;; amdgpu-corpus repo=ROCm/rocFFT kind=compiled arch=gfx906 opt=O3
	.text
	.amdgcn_target "amdgcn-amd-amdhsa--gfx906"
	.amdhsa_code_object_version 6
	.protected	bluestein_single_back_len1274_dim1_dp_op_CI_CI ; -- Begin function bluestein_single_back_len1274_dim1_dp_op_CI_CI
	.globl	bluestein_single_back_len1274_dim1_dp_op_CI_CI
	.p2align	8
	.type	bluestein_single_back_len1274_dim1_dp_op_CI_CI,@function
bluestein_single_back_len1274_dim1_dp_op_CI_CI: ; @bluestein_single_back_len1274_dim1_dp_op_CI_CI
; %bb.0:
	s_load_dwordx4 s[12:15], s[4:5], 0x28
	s_mov_b64 s[50:51], s[2:3]
	v_mul_u32_u24_e32 v1, 0x169, v0
	s_mov_b64 s[48:49], s[0:1]
	v_add_u32_sdwa v4, s6, v1 dst_sel:DWORD dst_unused:UNUSED_PAD src0_sel:DWORD src1_sel:WORD_1
	v_mov_b32_e32 v5, 0
	s_add_u32 s48, s48, s7
	s_waitcnt lgkmcnt(0)
	v_cmp_gt_u64_e32 vcc, s[12:13], v[4:5]
	s_addc_u32 s49, s49, 0
	s_and_saveexec_b64 s[0:1], vcc
	s_cbranch_execz .LBB0_23
; %bb.1:
	s_load_dwordx4 s[0:3], s[4:5], 0x18
	s_load_dwordx2 s[16:17], s[4:5], 0x0
	v_mov_b32_e32 v5, v4
	s_waitcnt lgkmcnt(0)
	s_load_dwordx4 s[8:11], s[0:1], 0x0
	s_movk_i32 s0, 0xb6
	v_mul_lo_u16_sdwa v1, v1, s0 dst_sel:DWORD dst_unused:UNUSED_PAD src0_sel:WORD_1 src1_sel:DWORD
	v_sub_u16_e32 v120, v0, v1
	buffer_store_dword v5, off, s[48:51], 0 offset:4 ; 4-byte Folded Spill
	s_nop 0
	buffer_store_dword v6, off, s[48:51], 0 offset:8 ; 4-byte Folded Spill
	s_waitcnt lgkmcnt(0)
	v_mad_u64_u32 v[0:1], s[0:1], s10, v4, 0
	v_mad_u64_u32 v[2:3], s[0:1], s8, v120, 0
	v_lshlrev_b32_e32 v255, 4, v120
	v_add_co_u32_e64 v176, s[6:7], s16, v255
	v_mad_u64_u32 v[4:5], s[0:1], s11, v4, v[1:2]
	v_mad_u64_u32 v[5:6], s[0:1], s9, v120, v[3:4]
	v_mov_b32_e32 v1, v4
	v_lshlrev_b64 v[0:1], 4, v[0:1]
	v_mov_b32_e32 v6, s15
	v_mov_b32_e32 v3, v5
	v_add_co_u32_e32 v4, vcc, s14, v0
	v_addc_co_u32_e32 v5, vcc, v6, v1, vcc
	v_lshlrev_b64 v[0:1], 4, v[2:3]
	s_mul_i32 s0, s9, 0x27d
	s_mul_hi_u32 s1, s8, 0x27d
	v_add_co_u32_e32 v0, vcc, v4, v0
	v_mov_b32_e32 v2, s17
	s_add_i32 s1, s1, s0
	s_mul_i32 s0, s8, 0x27d
	v_addc_co_u32_e32 v1, vcc, v5, v1, vcc
	v_addc_co_u32_e64 v13, vcc, 0, v2, s[6:7]
	s_lshl_b64 s[14:15], s[0:1], 4
	v_mov_b32_e32 v16, s15
	v_add_co_u32_e32 v10, vcc, s14, v0
	v_addc_co_u32_e32 v11, vcc, v1, v16, vcc
	s_movk_i32 s0, 0x2000
	s_mul_hi_u32 s1, s8, 0xfffffe39
	global_load_dwordx4 v[2:5], v[0:1], off
	global_load_dwordx4 v[6:9], v[10:11], off
	v_add_co_u32_e32 v0, vcc, s0, v176
	s_mul_i32 s0, s9, 0xfffffe39
	s_sub_i32 s1, s1, s8
	s_add_i32 s1, s1, s0
	s_mul_i32 s0, s8, 0xfffffe39
	v_addc_co_u32_e32 v1, vcc, 0, v13, vcc
	s_lshl_b64 s[18:19], s[0:1], 4
	global_load_dwordx4 v[62:65], v[0:1], off offset:2000
	v_mov_b32_e32 v12, s19
	v_add_co_u32_e32 v0, vcc, s18, v10
	v_addc_co_u32_e32 v1, vcc, v11, v12, vcc
	v_add_co_u32_e32 v10, vcc, s14, v0
	v_addc_co_u32_e32 v11, vcc, v1, v16, vcc
	s_movk_i32 s0, 0x3000
	v_add_co_u32_e32 v40, vcc, s0, v176
	global_load_dwordx4 v[20:23], v255, s[16:17]
	global_load_dwordx4 v[66:69], v255, s[16:17] offset:2912
	v_addc_co_u32_e32 v41, vcc, 0, v13, vcc
	global_load_dwordx4 v[24:27], v[0:1], off
	global_load_dwordx4 v[28:31], v[10:11], off
	global_load_dwordx4 v[70:73], v[40:41], off offset:816
	v_add_co_u32_e32 v0, vcc, s18, v10
	v_addc_co_u32_e32 v1, vcc, v11, v12, vcc
	s_movk_i32 s0, 0x1000
	v_add_co_u32_e32 v10, vcc, s0, v176
	v_addc_co_u32_e32 v11, vcc, 0, v13, vcc
	global_load_dwordx4 v[32:35], v[0:1], off
	v_add_co_u32_e32 v0, vcc, s14, v0
	buffer_store_dword v13, off, s[48:51], 0 ; 4-byte Folded Spill
	global_load_dwordx4 v[12:15], v[10:11], off offset:1728
	v_addc_co_u32_e32 v1, vcc, v1, v16, vcc
	global_load_dwordx4 v[16:19], v[40:41], off offset:3728
	global_load_dwordx4 v[36:39], v[0:1], off
	s_movk_i32 s0, 0x5b
	v_cmp_gt_u16_e64 s[0:1], s0, v120
	s_waitcnt vmcnt(10)
	v_mul_f64 v[42:43], v[8:9], v[64:65]
	v_mul_f64 v[44:45], v[6:7], v[64:65]
	v_fma_f64 v[6:7], v[6:7], v[62:63], v[42:43]
	buffer_store_dword v62, off, s[48:51], 0 offset:12 ; 4-byte Folded Spill
	s_nop 0
	buffer_store_dword v63, off, s[48:51], 0 offset:16 ; 4-byte Folded Spill
	buffer_store_dword v64, off, s[48:51], 0 offset:20 ; 4-byte Folded Spill
	;; [unrolled: 1-line block ×3, first 2 shown]
	s_waitcnt vmcnt(13)
	v_mul_f64 v[10:11], v[4:5], v[22:23]
	v_mul_f64 v[40:41], v[2:3], v[22:23]
	s_waitcnt vmcnt(11)
	v_mul_f64 v[46:47], v[26:27], v[68:69]
	v_mul_f64 v[48:49], v[24:25], v[68:69]
	;; [unrolled: 3-line block ×3, first 2 shown]
	v_fma_f64 v[2:3], v[2:3], v[20:21], v[10:11]
	v_fma_f64 v[4:5], v[4:5], v[20:21], -v[40:41]
	v_fma_f64 v[24:25], v[24:25], v[66:67], v[46:47]
	buffer_store_dword v66, off, s[48:51], 0 offset:28 ; 4-byte Folded Spill
	s_nop 0
	buffer_store_dword v67, off, s[48:51], 0 offset:32 ; 4-byte Folded Spill
	buffer_store_dword v68, off, s[48:51], 0 offset:36 ; 4-byte Folded Spill
	buffer_store_dword v69, off, s[48:51], 0 offset:40 ; 4-byte Folded Spill
	v_fma_f64 v[28:29], v[28:29], v[70:71], v[50:51]
	buffer_store_dword v70, off, s[48:51], 0 offset:44 ; 4-byte Folded Spill
	s_nop 0
	buffer_store_dword v71, off, s[48:51], 0 offset:48 ; 4-byte Folded Spill
	buffer_store_dword v72, off, s[48:51], 0 offset:52 ; 4-byte Folded Spill
	;; [unrolled: 1-line block ×3, first 2 shown]
	s_load_dwordx2 s[12:13], s[4:5], 0x38
	s_load_dwordx4 s[8:11], s[2:3], 0x0
	s_waitcnt vmcnt(14)
	v_mul_f64 v[54:55], v[34:35], v[14:15]
	v_mul_f64 v[56:57], v[32:33], v[14:15]
	s_waitcnt vmcnt(12)
	v_mul_f64 v[58:59], v[38:39], v[18:19]
	v_mul_f64 v[60:61], v[36:37], v[18:19]
	v_fma_f64 v[32:33], v[32:33], v[12:13], v[54:55]
	v_fma_f64 v[34:35], v[34:35], v[12:13], -v[56:57]
	v_fma_f64 v[36:37], v[36:37], v[16:17], v[58:59]
	v_fma_f64 v[38:39], v[38:39], v[16:17], -v[60:61]
	v_fma_f64 v[8:9], v[8:9], v[62:63], -v[44:45]
	;; [unrolled: 1-line block ×4, first 2 shown]
	ds_write_b128 v255, v[2:5]
	ds_write_b128 v255, v[6:9] offset:10192
	ds_write_b128 v255, v[24:27] offset:2912
	;; [unrolled: 1-line block ×5, first 2 shown]
	s_and_saveexec_b64 s[2:3], s[0:1]
	s_cbranch_execz .LBB0_3
; %bb.2:
	buffer_load_dword v11, off, s[48:51], 0 ; 4-byte Folded Reload
	v_mov_b32_e32 v2, s19
	v_add_co_u32_e32 v8, vcc, s18, v0
	v_addc_co_u32_e32 v9, vcc, v1, v2, vcc
	v_add_co_u32_e32 v4, vcc, 0x2000, v176
	v_mov_b32_e32 v10, s15
	global_load_dwordx4 v[0:3], v[8:9], off
	s_waitcnt vmcnt(1)
	v_addc_co_u32_e32 v5, vcc, 0, v11, vcc
	v_add_co_u32_e32 v28, vcc, s14, v8
	v_addc_co_u32_e32 v29, vcc, v9, v10, vcc
	s_movk_i32 s14, 0x4000
	v_add_co_u32_e32 v30, vcc, s14, v176
	global_load_dwordx4 v[4:7], v[4:5], off offset:544
	v_addc_co_u32_e32 v31, vcc, 0, v11, vcc
	global_load_dwordx4 v[8:11], v[30:31], off offset:2544
	global_load_dwordx4 v[24:27], v[28:29], off
	s_waitcnt vmcnt(2)
	v_mul_f64 v[28:29], v[2:3], v[6:7]
	v_mul_f64 v[6:7], v[0:1], v[6:7]
	s_waitcnt vmcnt(0)
	v_mul_f64 v[30:31], v[26:27], v[10:11]
	v_mul_f64 v[10:11], v[24:25], v[10:11]
	v_fma_f64 v[0:1], v[0:1], v[4:5], v[28:29]
	v_fma_f64 v[2:3], v[2:3], v[4:5], -v[6:7]
	v_fma_f64 v[4:5], v[24:25], v[8:9], v[30:31]
	v_fma_f64 v[6:7], v[26:27], v[8:9], -v[10:11]
	ds_write_b128 v255, v[0:3] offset:8736
	ds_write_b128 v255, v[4:7] offset:18928
.LBB0_3:
	s_or_b64 exec, exec, s[2:3]
	s_waitcnt vmcnt(0) lgkmcnt(0)
	s_barrier
	ds_read_b128 v[24:27], v255
	ds_read_b128 v[36:39], v255 offset:2912
	ds_read_b128 v[28:31], v255 offset:10192
	;; [unrolled: 1-line block ×5, first 2 shown]
                                        ; implicit-def: $vgpr60_vgpr61
                                        ; implicit-def: $vgpr44_vgpr45
	s_and_saveexec_b64 s[2:3], s[0:1]
	s_cbranch_execz .LBB0_5
; %bb.4:
	ds_read_b128 v[60:63], v255 offset:8736
	ds_read_b128 v[44:47], v255 offset:18928
.LBB0_5:
	s_or_b64 exec, exec, s[2:3]
	s_waitcnt lgkmcnt(3)
	v_add_f64 v[28:29], v[24:25], -v[28:29]
	v_add_f64 v[30:31], v[26:27], -v[30:31]
	s_waitcnt lgkmcnt(1)
	v_add_f64 v[40:41], v[36:37], -v[40:41]
	v_add_f64 v[42:43], v[38:39], -v[42:43]
	;; [unrolled: 3-line block ×3, first 2 shown]
	v_add_f64 v[32:33], v[60:61], -v[44:45]
	v_add_f64 v[34:35], v[62:63], -v[46:47]
	v_fma_f64 v[24:25], v[24:25], 2.0, -v[28:29]
	v_fma_f64 v[26:27], v[26:27], 2.0, -v[30:31]
	;; [unrolled: 1-line block ×8, first 2 shown]
	s_load_dwordx2 s[4:5], s[4:5], 0x8
	s_movk_i32 s2, 0x222
	v_add_co_u32_e32 v0, vcc, s2, v120
	v_lshlrev_b16_e32 v1, 1, v120
	v_lshlrev_b32_e32 v2, 5, v120
	v_lshlrev_b32_e32 v1, 4, v1
	;; [unrolled: 1-line block ×3, first 2 shown]
	s_waitcnt lgkmcnt(0)
	s_barrier
	ds_write_b128 v1, v[24:27]
	buffer_store_dword v1, off, s[48:51], 0 offset:68 ; 4-byte Folded Spill
	ds_write_b128 v1, v[28:31] offset:16
	ds_write_b128 v2, v[44:47] offset:5824
	;; [unrolled: 1-line block ×4, first 2 shown]
	buffer_store_dword v2, off, s[48:51], 0 offset:72 ; 4-byte Folded Spill
	ds_write_b128 v2, v[48:51] offset:11664
	buffer_store_dword v0, off, s[48:51], 0 offset:64 ; 4-byte Folded Spill
	s_and_saveexec_b64 s[2:3], s[0:1]
	s_cbranch_execz .LBB0_7
; %bb.6:
	buffer_load_dword v0, off, s[48:51], 0 offset:64 ; 4-byte Folded Reload
	s_waitcnt vmcnt(0)
	ds_write_b128 v0, v[36:39]
	ds_write_b128 v0, v[32:35] offset:16
.LBB0_7:
	s_or_b64 exec, exec, s[2:3]
	s_movk_i32 s2, 0x62
	v_cmp_gt_u16_e64 s[2:3], s2, v120
	s_waitcnt vmcnt(0) lgkmcnt(0)
	s_barrier
	s_waitcnt lgkmcnt(0)
                                        ; implicit-def: $vgpr60_vgpr61
                                        ; implicit-def: $vgpr64_vgpr65
                                        ; implicit-def: $vgpr68_vgpr69
                                        ; implicit-def: $vgpr84_vgpr85
                                        ; implicit-def: $vgpr52_vgpr53
	s_and_saveexec_b64 s[14:15], s[2:3]
	s_cbranch_execz .LBB0_9
; %bb.8:
	ds_read_b128 v[24:27], v255
	ds_read_b128 v[28:31], v255 offset:1568
	ds_read_b128 v[44:47], v255 offset:3136
	ds_read_b128 v[40:43], v255 offset:4704
	ds_read_b128 v[56:59], v255 offset:6272
	ds_read_b128 v[48:51], v255 offset:7840
	ds_read_b128 v[36:39], v255 offset:9408
	ds_read_b128 v[32:35], v255 offset:10976
	ds_read_b128 v[60:63], v255 offset:12544
	ds_read_b128 v[64:67], v255 offset:14112
	ds_read_b128 v[68:71], v255 offset:15680
	ds_read_b128 v[84:87], v255 offset:17248
	ds_read_b128 v[52:55], v255 offset:18816
.LBB0_9:
	s_or_b64 exec, exec, s[14:15]
	v_and_b32_e32 v0, 1, v120
	buffer_store_dword v0, off, s[48:51], 0 offset:60 ; 4-byte Folded Spill
	v_mul_u32_u24_e32 v0, 12, v0
	v_lshlrev_b32_e32 v4, 4, v0
	global_load_dwordx4 v[72:75], v4, s[4:5]
	global_load_dwordx4 v[76:79], v4, s[4:5] offset:16
	global_load_dwordx4 v[80:83], v4, s[4:5] offset:32
	;; [unrolled: 1-line block ×10, first 2 shown]
	s_mov_b32 s29, 0xbfddbe06
	s_mov_b32 s28, 0x4267c47c
	s_mov_b32 s30, 0x42a4c3d2
	s_mov_b32 s31, 0xbfea55e2
	s_mov_b32 s14, 0xe00740e9
	s_mov_b32 s15, 0x3fec55a7
	s_mov_b32 s18, 0x1ea71119
	s_mov_b32 s19, 0x3fe22d96
	s_mov_b32 s36, 0x66966769
	s_mov_b32 s37, 0xbfefc445
	s_mov_b32 s20, 0xebaa3ed8
	s_mov_b32 s21, 0x3fbedb7d
	s_mov_b32 s34, 0x2ef20147
	s_mov_b32 s35, 0xbfedeba7
	s_mov_b32 s24, 0xb2365da1
	s_mov_b32 s25, 0xbfd6b1d8
	s_mov_b32 s38, 0x24c2f84
	s_mov_b32 s39, 0xbfe5384d
	s_mov_b32 s22, 0xd0032e0c
	s_mov_b32 s23, 0xbfe7f3cc
	s_mov_b32 s40, 0x4bc48dbf
	s_mov_b32 s41, 0xbfcea1e5
	s_mov_b32 s26, 0x93053d00
	s_mov_b32 s27, 0xbfef11f4
	s_mov_b32 s45, 0x3fe5384d
	s_mov_b32 s44, s38
	s_mov_b32 s43, 0x3fefc445
	s_mov_b32 s42, s36
	s_mov_b32 s47, 0x3fedeba7
	s_mov_b32 s46, s34
	s_waitcnt vmcnt(10) lgkmcnt(11)
	v_mul_f64 v[0:1], v[30:31], v[74:75]
	v_mul_f64 v[2:3], v[28:29], v[74:75]
	v_fma_f64 v[121:122], v[28:29], v[72:73], -v[0:1]
	s_waitcnt vmcnt(9) lgkmcnt(10)
	v_mul_f64 v[0:1], v[46:47], v[78:79]
	v_fma_f64 v[128:129], v[30:31], v[72:73], v[2:3]
	v_mul_f64 v[2:3], v[44:45], v[78:79]
	v_fma_f64 v[44:45], v[44:45], v[76:77], -v[0:1]
	s_waitcnt vmcnt(8) lgkmcnt(9)
	v_mul_f64 v[0:1], v[42:43], v[82:83]
	v_fma_f64 v[46:47], v[46:47], v[76:77], v[2:3]
	;; [unrolled: 5-line block ×5, first 2 shown]
	v_fma_f64 v[42:43], v[36:37], v[112:113], -v[0:1]
	v_mul_f64 v[0:1], v[36:37], v[114:115]
	v_fma_f64 v[36:37], v[38:39], v[112:113], v[0:1]
	s_waitcnt vmcnt(4) lgkmcnt(5)
	v_mul_f64 v[0:1], v[34:35], v[118:119]
	v_fma_f64 v[38:39], v[32:33], v[116:117], -v[0:1]
	v_mul_f64 v[0:1], v[32:33], v[118:119]
	v_add_f64 v[219:220], v[42:43], v[38:39]
	v_fma_f64 v[32:33], v[34:35], v[116:117], v[0:1]
	s_waitcnt vmcnt(3) lgkmcnt(4)
	v_mul_f64 v[0:1], v[62:63], v[110:111]
	v_fma_f64 v[34:35], v[60:61], v[108:109], -v[0:1]
	v_mul_f64 v[0:1], v[60:61], v[110:111]
	v_add_f64 v[189:190], v[6:7], v[34:35]
	v_fma_f64 v[56:57], v[62:63], v[108:109], v[0:1]
	s_waitcnt vmcnt(2) lgkmcnt(3)
	v_mul_f64 v[0:1], v[66:67], v[106:107]
	v_mov_b32_e32 v62, v120
	v_add_f64 v[160:161], v[8:9], -v[56:57]
	v_fma_f64 v[48:49], v[64:65], v[104:105], -v[0:1]
	v_mul_f64 v[0:1], v[64:65], v[106:107]
	v_mul_f64 v[203:204], v[160:161], s[42:43]
	v_add_f64 v[177:178], v[10:11], v[48:49]
	v_fma_f64 v[60:61], v[66:67], v[104:105], v[0:1]
	s_waitcnt vmcnt(1) lgkmcnt(2)
	v_mul_f64 v[0:1], v[70:71], v[98:99]
	v_mul_f64 v[233:234], v[160:161], s[30:31]
	v_add_f64 v[253:254], v[28:29], -v[60:61]
	v_fma_f64 v[50:51], v[68:69], v[96:97], -v[0:1]
	v_mul_f64 v[0:1], v[68:69], v[98:99]
	v_mul_f64 v[199:200], v[253:254], s[44:45]
	v_add_f64 v[179:180], v[30:31], v[50:51]
	v_fma_f64 v[64:65], v[70:71], v[96:97], v[0:1]
	s_waitcnt vmcnt(0) lgkmcnt(1)
	v_mul_f64 v[0:1], v[86:87], v[94:95]
	v_mul_f64 v[158:159], v[253:254], s[36:37]
	v_add_f64 v[249:250], v[40:41], -v[64:65]
	v_fma_f64 v[58:59], v[84:85], v[92:93], -v[0:1]
	v_mul_f64 v[0:1], v[84:85], v[94:95]
	v_mul_f64 v[197:198], v[249:250], s[40:41]
	v_add_f64 v[164:165], v[44:45], v[58:59]
	v_fma_f64 v[66:67], v[86:87], v[92:93], v[0:1]
	global_load_dwordx4 v[84:87], v4, s[4:5] offset:176
	v_mul_f64 v[229:230], v[249:250], s[46:47]
	v_mul_f64 v[170:171], v[249:250], s[30:31]
	v_add_f64 v[215:216], v[46:47], -v[66:67]
	v_mul_f64 v[2:3], v[215:216], s[30:31]
	v_mul_f64 v[195:196], v[215:216], s[34:35]
	;; [unrolled: 1-line block ×5, first 2 shown]
	s_waitcnt vmcnt(0) lgkmcnt(0)
	v_mul_f64 v[0:1], v[54:55], v[86:87]
	v_fma_f64 v[68:69], v[52:53], v[84:85], -v[0:1]
	v_mul_f64 v[0:1], v[52:53], v[86:87]
	v_add_f64 v[174:175], v[121:122], v[68:69]
	v_fma_f64 v[52:53], v[54:55], v[84:85], v[0:1]
	v_add_f64 v[124:125], v[128:129], -v[52:53]
	v_mul_f64 v[0:1], v[124:125], s[28:29]
	buffer_store_dword v0, off, s[48:51], 0 offset:236 ; 4-byte Folded Spill
	s_nop 0
	buffer_store_dword v1, off, s[48:51], 0 offset:240 ; 4-byte Folded Spill
	buffer_store_dword v2, off, s[48:51], 0 offset:244 ; 4-byte Folded Spill
	s_nop 0
	buffer_store_dword v3, off, s[48:51], 0 offset:248 ; 4-byte Folded Spill
	;; [unrolled: 3-line block ×4, first 2 shown]
	v_mul_f64 v[193:194], v[124:125], s[30:31]
	v_mul_f64 v[227:228], v[124:125], s[36:37]
	v_fma_f64 v[0:1], v[174:175], s[14:15], v[0:1]
	v_fma_f64 v[2:3], v[164:165], s[18:19], v[2:3]
	v_add_f64 v[126:127], v[121:122], -v[68:69]
	v_add_f64 v[172:173], v[128:129], v[52:53]
	v_add_f64 v[0:1], v[24:25], v[0:1]
	v_mul_f64 v[221:222], v[126:127], s[30:31]
	v_mul_f64 v[245:246], v[126:127], s[36:37]
	v_add_f64 v[0:1], v[2:3], v[0:1]
	v_mul_f64 v[2:3], v[126:127], s[28:29]
	buffer_store_dword v2, off, s[48:51], 0 offset:260 ; 4-byte Folded Spill
	s_nop 0
	buffer_store_dword v3, off, s[48:51], 0 offset:264 ; 4-byte Folded Spill
	buffer_store_dword v44, off, s[48:51], 0 offset:124 ; 4-byte Folded Spill
	s_nop 0
	buffer_store_dword v45, off, s[48:51], 0 offset:128 ; 4-byte Folded Spill
	;; [unrolled: 3-line block ×4, first 2 shown]
	s_mov_b32 s29, 0x3fddbe06
	v_mul_f64 v[231:232], v[253:254], s[28:29]
	v_mul_f64 v[156:157], v[249:250], s[28:29]
	;; [unrolled: 1-line block ×3, first 2 shown]
	v_fma_f64 v[2:3], v[172:173], s[14:15], -v[2:3]
	v_add_f64 v[217:218], v[44:45], -v[58:59]
	v_add_f64 v[166:167], v[46:47], v[66:67]
	v_add_f64 v[58:59], v[36:37], -v[32:33]
	v_add_f64 v[2:3], v[26:27], v[2:3]
	v_mul_f64 v[4:5], v[217:218], s[30:31]
	buffer_store_dword v4, off, s[48:51], 0 offset:252 ; 4-byte Folded Spill
	s_nop 0
	buffer_store_dword v5, off, s[48:51], 0 offset:256 ; 4-byte Folded Spill
	v_mul_f64 v[185:186], v[58:59], s[40:41]
	v_mul_f64 v[205:206], v[217:218], s[34:35]
	;; [unrolled: 1-line block ×7, first 2 shown]
	v_fma_f64 v[4:5], v[166:167], s[18:19], -v[4:5]
	v_add_f64 v[2:3], v[4:5], v[2:3]
	v_mul_f64 v[4:5], v[249:250], s[36:37]
	buffer_store_dword v4, off, s[48:51], 0 offset:268 ; 4-byte Folded Spill
	s_nop 0
	buffer_store_dword v5, off, s[48:51], 0 offset:272 ; 4-byte Folded Spill
	buffer_store_dword v30, off, s[48:51], 0 offset:108 ; 4-byte Folded Spill
	s_nop 0
	buffer_store_dword v31, off, s[48:51], 0 offset:112 ; 4-byte Folded Spill
	;; [unrolled: 3-line block ×4, first 2 shown]
	v_fma_f64 v[4:5], v[179:180], s[20:21], v[4:5]
	v_add_f64 v[251:252], v[30:31], -v[50:51]
	v_add_f64 v[183:184], v[40:41], v[64:65]
	v_mul_f64 v[40:41], v[124:125], s[34:35]
	v_mul_f64 v[50:51], v[215:216], s[28:29]
	v_add_f64 v[0:1], v[4:5], v[0:1]
	v_mul_f64 v[4:5], v[251:252], s[36:37]
	buffer_store_dword v4, off, s[48:51], 0 offset:276 ; 4-byte Folded Spill
	s_nop 0
	buffer_store_dword v5, off, s[48:51], 0 offset:280 ; 4-byte Folded Spill
	v_mul_f64 v[207:208], v[251:252], s[40:41]
	v_mul_f64 v[235:236], v[251:252], s[46:47]
	;; [unrolled: 1-line block ×3, first 2 shown]
	v_fma_f64 v[4:5], v[183:184], s[20:21], -v[4:5]
	v_add_f64 v[2:3], v[4:5], v[2:3]
	v_mul_f64 v[4:5], v[253:254], s[34:35]
	buffer_store_dword v4, off, s[48:51], 0 offset:284 ; 4-byte Folded Spill
	s_nop 0
	buffer_store_dword v5, off, s[48:51], 0 offset:288 ; 4-byte Folded Spill
	buffer_store_dword v10, off, s[48:51], 0 offset:92 ; 4-byte Folded Spill
	s_nop 0
	buffer_store_dword v11, off, s[48:51], 0 offset:96 ; 4-byte Folded Spill
	;; [unrolled: 3-line block ×5, first 2 shown]
	v_fma_f64 v[4:5], v[177:178], s[24:25], v[4:5]
	v_add_f64 v[54:55], v[10:11], -v[48:49]
	v_add_f64 v[181:182], v[28:29], v[60:61]
	v_mul_f64 v[48:49], v[124:125], s[38:39]
	v_add_f64 v[0:1], v[4:5], v[0:1]
	v_mul_f64 v[4:5], v[54:55], s[34:35]
	buffer_store_dword v4, off, s[48:51], 0 offset:292 ; 4-byte Folded Spill
	s_nop 0
	buffer_store_dword v5, off, s[48:51], 0 offset:296 ; 4-byte Folded Spill
	v_mul_f64 v[209:210], v[54:55], s[44:45]
	v_mul_f64 v[237:238], v[54:55], s[28:29]
	;; [unrolled: 1-line block ×3, first 2 shown]
	s_mov_b32 s37, 0x3fcea1e5
	s_mov_b32 s36, s40
	v_mul_f64 v[152:153], v[160:161], s[36:37]
	s_mov_b32 s45, 0x3fea55e2
	s_mov_b32 s44, s30
	v_mul_f64 v[154:155], v[58:59], s[44:45]
	v_mul_f64 v[148:149], v[253:254], s[36:37]
	;; [unrolled: 1-line block ×3, first 2 shown]
	v_fma_f64 v[4:5], v[181:182], s[24:25], -v[4:5]
	v_add_f64 v[2:3], v[4:5], v[2:3]
	v_mul_f64 v[4:5], v[160:161], s[38:39]
	buffer_store_dword v4, off, s[48:51], 0 offset:300 ; 4-byte Folded Spill
	s_nop 0
	buffer_store_dword v5, off, s[48:51], 0 offset:304 ; 4-byte Folded Spill
	buffer_store_dword v6, off, s[48:51], 0 offset:76 ; 4-byte Folded Spill
	s_nop 0
	buffer_store_dword v7, off, s[48:51], 0 offset:80 ; 4-byte Folded Spill
	;; [unrolled: 3-line block ×5, first 2 shown]
	v_fma_f64 v[4:5], v[189:190], s[22:23], v[4:5]
	v_add_f64 v[162:163], v[6:7], -v[34:35]
	v_add_f64 v[191:192], v[8:9], v[56:57]
	v_mul_f64 v[34:35], v[126:127], s[38:39]
	v_mul_f64 v[56:57], v[217:218], s[28:29]
	v_add_f64 v[0:1], v[4:5], v[0:1]
	v_mul_f64 v[4:5], v[162:163], s[38:39]
	buffer_store_dword v4, off, s[48:51], 0 offset:308 ; 4-byte Folded Spill
	s_nop 0
	buffer_store_dword v5, off, s[48:51], 0 offset:312 ; 4-byte Folded Spill
	buffer_store_dword v42, off, s[48:51], 0 offset:156 ; 4-byte Folded Spill
	s_nop 0
	buffer_store_dword v43, off, s[48:51], 0 offset:160 ; 4-byte Folded Spill
	;; [unrolled: 3-line block ×5, first 2 shown]
	v_mul_f64 v[211:212], v[162:163], s[42:43]
	v_mul_f64 v[241:242], v[162:163], s[30:31]
	;; [unrolled: 1-line block ×3, first 2 shown]
	s_waitcnt vmcnt(0)
	s_barrier
	v_fma_f64 v[4:5], v[191:192], s[22:23], -v[4:5]
	v_add_f64 v[60:61], v[42:43], -v[38:39]
	v_add_f64 v[223:224], v[36:37], v[32:33]
	v_mul_f64 v[42:43], v[126:127], s[34:35]
	v_mul_f64 v[32:33], v[217:218], s[42:43]
	v_mul_f64 v[38:39], v[162:163], s[28:29]
	v_mul_f64 v[217:218], v[249:250], s[38:39]
	v_mul_f64 v[249:250], v[251:252], s[38:39]
	v_add_f64 v[2:3], v[4:5], v[2:3]
	v_fma_f64 v[4:5], v[219:220], s[26:27], v[185:186]
	v_mul_f64 v[187:188], v[60:61], s[40:41]
	v_mul_f64 v[213:214], v[60:61], s[28:29]
	v_mul_f64 v[243:244], v[60:61], s[38:39]
	v_mul_f64 v[30:31], v[60:61], s[44:45]
	v_mul_f64 v[36:37], v[60:61], s[34:35]
	v_add_f64 v[120:121], v[4:5], v[0:1]
	v_fma_f64 v[0:1], v[223:224], s[26:27], -v[187:188]
	v_fma_f64 v[4:5], v[166:167], s[24:25], -v[205:206]
	v_add_f64 v[122:123], v[0:1], v[2:3]
	v_fma_f64 v[0:1], v[174:175], s[18:19], v[193:194]
	v_fma_f64 v[2:3], v[164:165], s[24:25], v[195:196]
	v_add_f64 v[0:1], v[24:25], v[0:1]
	v_add_f64 v[0:1], v[2:3], v[0:1]
	v_fma_f64 v[2:3], v[172:173], s[18:19], -v[221:222]
	v_add_f64 v[2:3], v[26:27], v[2:3]
	v_add_f64 v[2:3], v[4:5], v[2:3]
	v_fma_f64 v[4:5], v[179:180], s[26:27], v[197:198]
	v_add_f64 v[0:1], v[4:5], v[0:1]
	v_fma_f64 v[4:5], v[183:184], s[26:27], -v[207:208]
	v_add_f64 v[2:3], v[4:5], v[2:3]
	v_fma_f64 v[4:5], v[177:178], s[22:23], v[199:200]
	v_add_f64 v[0:1], v[4:5], v[0:1]
	v_fma_f64 v[4:5], v[181:182], s[22:23], -v[209:210]
	v_add_f64 v[2:3], v[4:5], v[2:3]
	v_fma_f64 v[4:5], v[189:190], s[20:21], v[203:204]
	v_add_f64 v[0:1], v[4:5], v[0:1]
	v_fma_f64 v[4:5], v[191:192], s[20:21], -v[211:212]
	v_add_f64 v[2:3], v[4:5], v[2:3]
	v_fma_f64 v[4:5], v[219:220], s[14:15], v[201:202]
	v_add_f64 v[128:129], v[4:5], v[0:1]
	v_fma_f64 v[0:1], v[223:224], s[14:15], -v[213:214]
	v_fma_f64 v[4:5], v[166:167], s[26:27], -v[247:248]
	v_add_f64 v[130:131], v[0:1], v[2:3]
	v_fma_f64 v[0:1], v[174:175], s[20:21], v[227:228]
	v_fma_f64 v[2:3], v[164:165], s[26:27], v[225:226]
	v_add_f64 v[0:1], v[24:25], v[0:1]
	v_add_f64 v[0:1], v[2:3], v[0:1]
	v_fma_f64 v[2:3], v[172:173], s[20:21], -v[245:246]
	v_add_f64 v[2:3], v[26:27], v[2:3]
	v_add_f64 v[2:3], v[4:5], v[2:3]
	v_fma_f64 v[4:5], v[179:180], s[24:25], v[229:230]
	v_add_f64 v[0:1], v[4:5], v[0:1]
	v_fma_f64 v[4:5], v[183:184], s[24:25], -v[235:236]
	v_add_f64 v[2:3], v[4:5], v[2:3]
	v_fma_f64 v[4:5], v[177:178], s[14:15], v[231:232]
	v_add_f64 v[0:1], v[4:5], v[0:1]
	v_fma_f64 v[4:5], v[181:182], s[14:15], -v[237:238]
	v_add_f64 v[2:3], v[4:5], v[2:3]
	v_fma_f64 v[4:5], v[189:190], s[18:19], v[233:234]
	v_add_f64 v[0:1], v[4:5], v[0:1]
	v_fma_f64 v[4:5], v[191:192], s[18:19], -v[241:242]
	v_add_f64 v[2:3], v[4:5], v[2:3]
	v_fma_f64 v[4:5], v[219:220], s[22:23], v[239:240]
	;; [unrolled: 24-line block ×3, first 2 shown]
	v_add_f64 v[136:137], v[4:5], v[0:1]
	v_fma_f64 v[0:1], v[223:224], s[18:19], -v[30:31]
	v_fma_f64 v[4:5], v[166:167], s[20:21], -v[32:33]
	v_add_f64 v[138:139], v[0:1], v[2:3]
	v_fma_f64 v[0:1], v[174:175], s[22:23], v[48:49]
	v_fma_f64 v[2:3], v[164:165], s[20:21], v[150:151]
	v_add_f64 v[0:1], v[24:25], v[0:1]
	v_add_f64 v[0:1], v[2:3], v[0:1]
	v_fma_f64 v[2:3], v[172:173], s[22:23], -v[34:35]
	v_add_f64 v[2:3], v[26:27], v[2:3]
	v_add_f64 v[4:5], v[4:5], v[2:3]
	v_fma_f64 v[2:3], v[179:180], s[18:19], v[170:171]
	v_add_f64 v[0:1], v[2:3], v[0:1]
	v_mul_f64 v[2:3], v[251:252], s[30:31]
	v_mov_b32_e32 v252, v62
	v_lshrrev_b32_e32 v251, 1, v252
	v_fma_f64 v[6:7], v[183:184], s[18:19], -v[2:3]
	v_add_f64 v[4:5], v[6:7], v[4:5]
	v_fma_f64 v[6:7], v[177:178], s[26:27], v[148:149]
	v_add_f64 v[6:7], v[6:7], v[0:1]
	v_mul_f64 v[0:1], v[54:55], s[36:37]
	v_fma_f64 v[8:9], v[181:182], s[26:27], -v[0:1]
	v_add_f64 v[4:5], v[8:9], v[4:5]
	v_fma_f64 v[8:9], v[189:190], s[14:15], v[146:147]
	v_add_f64 v[6:7], v[8:9], v[6:7]
	v_fma_f64 v[8:9], v[191:192], s[14:15], -v[38:39]
	v_add_f64 v[4:5], v[8:9], v[4:5]
	v_fma_f64 v[8:9], v[219:220], s[24:25], v[168:169]
	v_add_f64 v[140:141], v[8:9], v[6:7]
	v_fma_f64 v[6:7], v[223:224], s[24:25], -v[36:37]
	v_fma_f64 v[8:9], v[164:165], s[14:15], v[50:51]
	v_add_f64 v[142:143], v[6:7], v[4:5]
	v_mul_f64 v[4:5], v[124:125], s[40:41]
	v_fma_f64 v[124:125], v[166:167], s[14:15], -v[56:57]
	v_fma_f64 v[6:7], v[174:175], s[26:27], v[4:5]
	v_add_f64 v[6:7], v[24:25], v[6:7]
	v_add_f64 v[6:7], v[8:9], v[6:7]
	v_mul_f64 v[8:9], v[126:127], s[40:41]
	v_fma_f64 v[10:11], v[172:173], s[26:27], -v[8:9]
	v_add_f64 v[10:11], v[26:27], v[10:11]
	v_add_f64 v[10:11], v[124:125], v[10:11]
	v_fma_f64 v[124:125], v[179:180], s[22:23], v[217:218]
	v_add_f64 v[6:7], v[124:125], v[6:7]
	v_fma_f64 v[124:125], v[183:184], s[22:23], -v[249:250]
	v_add_f64 v[124:125], v[124:125], v[10:11]
	v_fma_f64 v[10:11], v[177:178], s[18:19], v[215:216]
	v_add_f64 v[126:127], v[10:11], v[6:7]
	v_mul_f64 v[10:11], v[54:55], s[44:45]
	v_fma_f64 v[6:7], v[181:182], s[18:19], -v[10:11]
	v_add_f64 v[54:55], v[6:7], v[124:125]
	v_mul_f64 v[6:7], v[160:161], s[34:35]
	v_mul_f64 v[160:161], v[162:163], s[34:35]
	;; [unrolled: 1-line block ×3, first 2 shown]
	v_fma_f64 v[124:125], v[189:190], s[24:25], v[6:7]
	v_add_f64 v[124:125], v[124:125], v[126:127]
	v_fma_f64 v[126:127], v[191:192], s[24:25], -v[160:161]
	v_add_f64 v[126:127], v[126:127], v[54:55]
	v_mul_f64 v[54:55], v[58:59], s[42:43]
	v_fma_f64 v[58:59], v[219:220], s[20:21], v[54:55]
	v_add_f64 v[124:125], v[58:59], v[124:125]
	v_fma_f64 v[58:59], v[223:224], s[20:21], -v[162:163]
	v_add_f64 v[126:127], v[58:59], v[126:127]
	s_and_saveexec_b64 s[28:29], s[2:3]
	s_cbranch_execz .LBB0_11
; %bb.10:
	v_mul_f64 v[60:61], v[191:192], s[24:25]
	v_mul_f64 v[58:59], v[223:224], s[20:21]
	v_add_f64 v[60:61], v[160:161], v[60:61]
	v_mul_f64 v[160:161], v[181:182], s[18:19]
	v_add_f64 v[58:59], v[162:163], v[58:59]
	;; [unrolled: 2-line block ×3, first 2 shown]
	v_mul_f64 v[160:161], v[172:173], s[26:27]
	v_add_f64 v[6:7], v[162:163], -v[6:7]
	v_mul_f64 v[162:163], v[164:165], s[14:15]
	v_add_f64 v[8:9], v[8:9], v[160:161]
	v_mul_f64 v[160:161], v[166:167], s[14:15]
	v_add_f64 v[50:51], v[162:163], -v[50:51]
	v_mul_f64 v[162:163], v[179:180], s[22:23]
	v_add_f64 v[8:9], v[26:27], v[8:9]
	v_add_f64 v[56:57], v[56:57], v[160:161]
	v_mul_f64 v[160:161], v[174:175], s[26:27]
	v_add_f64 v[162:163], v[162:163], -v[217:218]
	v_mul_f64 v[217:218], v[172:173], s[22:23]
	v_add_f64 v[8:9], v[56:57], v[8:9]
	v_add_f64 v[4:5], v[160:161], -v[4:5]
	v_mul_f64 v[160:161], v[183:184], s[22:23]
	v_mul_f64 v[56:57], v[177:178], s[18:19]
	v_add_f64 v[34:35], v[34:35], v[217:218]
	v_mul_f64 v[217:218], v[183:184], s[26:27]
	v_add_f64 v[4:5], v[24:25], v[4:5]
	v_add_f64 v[160:161], v[249:250], v[160:161]
	v_add_f64 v[56:57], v[56:57], -v[215:216]
	v_mul_f64 v[215:216], v[166:167], s[20:21]
	v_add_f64 v[34:35], v[26:27], v[34:35]
	v_add_f64 v[4:5], v[50:51], v[4:5]
	v_mul_f64 v[50:51], v[183:184], s[18:19]
	v_add_f64 v[8:9], v[160:161], v[8:9]
	v_add_f64 v[32:33], v[32:33], v[215:216]
	v_mul_f64 v[160:161], v[219:220], s[20:21]
	v_mul_f64 v[215:216], v[174:175], s[18:19]
	v_add_f64 v[4:5], v[162:163], v[4:5]
	v_add_f64 v[2:3], v[2:3], v[50:51]
	v_mul_f64 v[50:51], v[181:182], s[26:27]
	v_add_f64 v[8:9], v[10:11], v[8:9]
	v_add_f64 v[10:11], v[32:33], v[34:35]
	v_mul_f64 v[34:35], v[174:175], s[22:23]
	v_mul_f64 v[162:163], v[172:173], s[14:15]
	;; [unrolled: 1-line block ×3, first 2 shown]
	v_add_f64 v[4:5], v[56:57], v[4:5]
	v_add_f64 v[54:55], v[160:161], -v[54:55]
	v_add_f64 v[0:1], v[0:1], v[50:51]
	v_mul_f64 v[50:51], v[191:192], s[14:15]
	v_add_f64 v[2:3], v[2:3], v[10:11]
	v_mul_f64 v[10:11], v[172:173], s[20:21]
	v_add_f64 v[34:35], v[34:35], -v[48:49]
	v_mul_f64 v[48:49], v[164:165], s[20:21]
	v_mul_f64 v[172:173], v[172:173], s[24:25]
	v_add_f64 v[4:5], v[6:7], v[4:5]
	v_add_f64 v[32:33], v[221:222], v[32:33]
	;; [unrolled: 1-line block ×3, first 2 shown]
	v_mul_f64 v[50:51], v[223:224], s[24:25]
	v_add_f64 v[0:1], v[0:1], v[2:3]
	v_mul_f64 v[2:3], v[179:180], s[18:19]
	v_add_f64 v[6:7], v[48:49], -v[150:151]
	v_add_f64 v[34:35], v[24:25], v[34:35]
	v_mul_f64 v[150:151], v[166:167], s[22:23]
	v_add_f64 v[42:43], v[42:43], v[172:173]
	v_mul_f64 v[48:49], v[166:167], s[18:19]
	;; [unrolled: 2-line block ×4, first 2 shown]
	v_add_f64 v[2:3], v[2:3], -v[170:171]
	v_add_f64 v[6:7], v[6:7], v[34:35]
	v_add_f64 v[44:45], v[44:45], v[150:151]
	v_mul_f64 v[150:151], v[183:184], s[14:15]
	v_add_f64 v[42:43], v[26:27], v[42:43]
	v_add_f64 v[50:51], v[50:51], -v[168:169]
	v_mul_f64 v[168:169], v[189:190], s[14:15]
	v_add_f64 v[0:1], v[0:1], -v[148:149]
	v_mul_f64 v[170:171], v[166:167], s[24:25]
	v_add_f64 v[2:3], v[2:3], v[6:7]
	v_mul_f64 v[166:167], v[166:167], s[26:27]
	v_add_f64 v[144:145], v[144:145], v[150:151]
	v_add_f64 v[42:43], v[44:45], v[42:43]
	v_add_f64 v[32:33], v[26:27], v[32:33]
	v_add_f64 v[6:7], v[168:169], -v[146:147]
	v_mul_f64 v[146:147], v[181:182], s[20:21]
	v_add_f64 v[8:9], v[60:61], v[8:9]
	v_add_f64 v[172:173], v[0:1], v[2:3]
	;; [unrolled: 1-line block ×3, first 2 shown]
	v_mul_f64 v[4:5], v[191:192], s[26:27]
	v_add_f64 v[42:43], v[144:145], v[42:43]
	v_mul_f64 v[60:61], v[174:175], s[24:25]
	v_mul_f64 v[160:161], v[174:175], s[14:15]
	v_add_f64 v[46:47], v[46:47], v[146:147]
	v_mul_f64 v[56:57], v[174:175], s[20:21]
	v_add_f64 v[54:55], v[6:7], v[172:173]
	;; [unrolled: 2-line block ×3, first 2 shown]
	v_mul_f64 v[28:29], v[223:224], s[18:19]
	v_mul_f64 v[34:35], v[164:165], s[24:25]
	;; [unrolled: 1-line block ×3, first 2 shown]
	v_add_f64 v[42:43], v[46:47], v[42:43]
	v_mul_f64 v[164:165], v[164:165], s[22:23]
	v_add_f64 v[40:41], v[60:61], -v[40:41]
	v_mul_f64 v[168:169], v[179:180], s[20:21]
	v_mul_f64 v[44:45], v[179:180], s[26:27]
	v_add_f64 v[28:29], v[30:31], v[28:29]
	v_mul_f64 v[146:147], v[179:180], s[24:25]
	v_mul_f64 v[179:180], v[179:180], s[14:15]
	v_add_f64 v[42:43], v[4:5], v[42:43]
	v_add_f64 v[4:5], v[50:51], v[54:55]
	;; [unrolled: 1-line block ×3, first 2 shown]
	v_mul_f64 v[54:55], v[219:220], s[18:19]
	v_add_f64 v[6:7], v[164:165], -v[70:71]
	v_add_f64 v[40:41], v[24:25], v[40:41]
	v_mul_f64 v[172:173], v[177:178], s[20:21]
	v_add_f64 v[156:157], v[179:180], -v[156:157]
	v_add_f64 v[10:11], v[28:29], v[42:43]
	v_add_f64 v[28:29], v[247:248], v[166:167]
	;; [unrolled: 1-line block ×3, first 2 shown]
	v_add_f64 v[50:51], v[54:55], -v[154:155]
	buffer_load_dword v54, off, s[48:51], 0 offset:148 ; 4-byte Folded Reload
	buffer_load_dword v55, off, s[48:51], 0 offset:152 ; 4-byte Folded Reload
	;; [unrolled: 1-line block ×4, first 2 shown]
	v_add_f64 v[6:7], v[6:7], v[40:41]
	v_mul_f64 v[46:47], v[189:190], s[22:23]
	v_mul_f64 v[40:41], v[189:190], s[20:21]
	v_mul_f64 v[179:180], v[189:190], s[18:19]
	v_add_f64 v[28:29], v[28:29], v[42:43]
	v_add_f64 v[42:43], v[205:206], v[170:171]
	v_mul_f64 v[189:190], v[189:190], s[26:27]
	v_add_f64 v[158:159], v[172:173], -v[158:159]
	v_add_f64 v[156:157], v[156:157], v[6:7]
	v_mul_f64 v[150:151], v[183:184], s[20:21]
	v_mul_f64 v[183:184], v[183:184], s[24:25]
	v_add_f64 v[2:3], v[58:59], v[8:9]
	v_mul_f64 v[58:59], v[181:182], s[22:23]
	v_add_f64 v[32:33], v[42:43], v[32:33]
	v_add_f64 v[152:153], v[189:190], -v[152:153]
	v_mul_f64 v[30:31], v[191:192], s[20:21]
	v_add_f64 v[156:157], v[158:159], v[156:157]
	v_add_f64 v[56:57], v[56:57], -v[227:228]
	v_add_f64 v[148:149], v[148:149], -v[225:226]
	v_mul_f64 v[70:71], v[177:178], s[14:15]
	v_add_f64 v[58:59], v[209:210], v[58:59]
	v_add_f64 v[146:147], v[146:147], -v[229:230]
	v_mul_f64 v[164:165], v[181:182], s[14:15]
	v_add_f64 v[30:31], v[211:212], v[30:31]
	v_add_f64 v[152:153], v[152:153], v[156:157]
	;; [unrolled: 1-line block ×4, first 2 shown]
	v_add_f64 v[70:71], v[70:71], -v[231:232]
	v_mul_f64 v[144:145], v[181:182], s[24:25]
	v_mul_f64 v[181:182], v[191:192], s[18:19]
	v_add_f64 v[158:159], v[237:238], v[164:165]
	v_add_f64 v[34:35], v[34:35], -v[195:196]
	v_mul_f64 v[60:61], v[177:178], s[24:25]
	v_add_f64 v[28:29], v[156:157], v[28:29]
	v_add_f64 v[156:157], v[207:208], v[217:218]
	;; [unrolled: 1-line block ×3, first 2 shown]
	v_add_f64 v[44:45], v[44:45], -v[197:198]
	v_mul_f64 v[8:9], v[177:178], s[22:23]
	v_mul_f64 v[177:178], v[191:192], s[22:23]
	;; [unrolled: 1-line block ×4, first 2 shown]
	v_add_f64 v[28:29], v[158:159], v[28:29]
	v_add_f64 v[32:33], v[156:157], v[32:33]
	;; [unrolled: 1-line block ×4, first 2 shown]
	v_add_f64 v[8:9], v[8:9], -v[199:200]
	v_mul_f64 v[36:37], v[219:220], s[14:15]
	v_mul_f64 v[38:39], v[223:224], s[14:15]
	;; [unrolled: 1-line block ×4, first 2 shown]
	v_add_f64 v[32:33], v[58:59], v[32:33]
	v_add_f64 v[56:57], v[70:71], v[56:57]
	v_add_f64 v[146:147], v[179:180], -v[233:234]
	v_add_f64 v[40:41], v[40:41], -v[203:204]
	v_add_f64 v[38:39], v[213:214], v[38:39]
	v_add_f64 v[148:149], v[243:244], v[223:224]
	;; [unrolled: 1-line block ×4, first 2 shown]
	s_waitcnt vmcnt(2)
	v_add_f64 v[54:55], v[26:27], v[54:55]
	s_waitcnt vmcnt(0)
	v_add_f64 v[154:155], v[24:25], v[62:63]
	buffer_load_dword v62, off, s[48:51], 0 offset:132 ; 4-byte Folded Reload
	buffer_load_dword v63, off, s[48:51], 0 offset:136 ; 4-byte Folded Reload
	s_waitcnt vmcnt(0)
	v_add_f64 v[54:55], v[54:55], v[62:63]
	buffer_load_dword v62, off, s[48:51], 0 offset:124 ; 4-byte Folded Reload
	buffer_load_dword v63, off, s[48:51], 0 offset:128 ; 4-byte Folded Reload
	;; [unrolled: 1-line block ×4, first 2 shown]
	s_waitcnt vmcnt(2)
	v_add_f64 v[154:155], v[154:155], v[62:63]
	s_waitcnt vmcnt(0)
	v_add_f64 v[42:43], v[54:55], v[42:43]
	buffer_load_dword v54, off, s[48:51], 0 offset:108 ; 4-byte Folded Reload
	buffer_load_dword v55, off, s[48:51], 0 offset:112 ; 4-byte Folded Reload
	;; [unrolled: 1-line block ×4, first 2 shown]
	s_waitcnt vmcnt(2)
	v_add_f64 v[54:55], v[154:155], v[54:55]
	s_waitcnt vmcnt(0)
	v_add_f64 v[42:43], v[42:43], v[62:63]
	buffer_load_dword v62, off, s[48:51], 0 offset:92 ; 4-byte Folded Reload
	buffer_load_dword v63, off, s[48:51], 0 offset:96 ; 4-byte Folded Reload
	;; [unrolled: 1-line block ×4, first 2 shown]
	v_add_f64 v[154:155], v[241:242], v[181:182]
	v_add_f64 v[28:29], v[154:155], v[28:29]
	v_add_f64 v[154:155], v[215:216], -v[193:194]
	s_waitcnt vmcnt(2)
	v_add_f64 v[54:55], v[54:55], v[62:63]
	s_waitcnt vmcnt(0)
	v_add_f64 v[42:43], v[42:43], v[58:59]
	buffer_load_dword v58, off, s[48:51], 0 offset:76 ; 4-byte Folded Reload
	buffer_load_dword v59, off, s[48:51], 0 offset:80 ; 4-byte Folded Reload
	;; [unrolled: 1-line block ×6, first 2 shown]
	s_waitcnt vmcnt(4)
	v_add_f64 v[54:55], v[54:55], v[58:59]
	s_waitcnt vmcnt(2)
	v_add_f64 v[70:71], v[62:63], v[162:163]
	;; [unrolled: 2-line block ×3, first 2 shown]
	buffer_load_dword v42, off, s[48:51], 0 offset:156 ; 4-byte Folded Reload
	buffer_load_dword v43, off, s[48:51], 0 offset:160 ; 4-byte Folded Reload
	v_add_f64 v[58:59], v[219:220], -v[239:240]
	v_add_f64 v[26:27], v[26:27], v[70:71]
	s_waitcnt vmcnt(0)
	v_add_f64 v[42:43], v[54:55], v[42:43]
	buffer_load_dword v54, off, s[48:51], 0 offset:236 ; 4-byte Folded Reload
	buffer_load_dword v55, off, s[48:51], 0 offset:240 ; 4-byte Folded Reload
	;; [unrolled: 1-line block ×4, first 2 shown]
	s_waitcnt vmcnt(2)
	v_add_f64 v[54:55], v[160:161], -v[54:55]
	s_waitcnt vmcnt(0)
	v_add_f64 v[48:49], v[62:63], v[48:49]
	buffer_load_dword v62, off, s[48:51], 0 offset:244 ; 4-byte Folded Reload
	buffer_load_dword v63, off, s[48:51], 0 offset:248 ; 4-byte Folded Reload
	v_add_f64 v[54:55], v[24:25], v[54:55]
	v_add_f64 v[26:27], v[48:49], v[26:27]
	;; [unrolled: 1-line block ×6, first 2 shown]
	v_add_f64 v[24:25], v[36:37], -v[201:202]
	v_add_f64 v[36:37], v[187:188], v[191:192]
	v_add_f64 v[8:9], v[40:41], v[8:9]
	;; [unrolled: 1-line block ×3, first 2 shown]
	s_waitcnt vmcnt(0)
	v_add_f64 v[70:71], v[174:175], -v[62:63]
	buffer_load_dword v62, off, s[48:51], 0 offset:180 ; 4-byte Folded Reload
	buffer_load_dword v63, off, s[48:51], 0 offset:184 ; 4-byte Folded Reload
	v_add_f64 v[54:55], v[70:71], v[54:55]
	s_waitcnt vmcnt(0)
	v_add_f64 v[32:33], v[32:33], v[62:63]
	buffer_load_dword v62, off, s[48:51], 0 offset:172 ; 4-byte Folded Reload
	buffer_load_dword v63, off, s[48:51], 0 offset:176 ; 4-byte Folded Reload
	s_waitcnt vmcnt(0)
	v_add_f64 v[42:43], v[42:43], v[62:63]
	buffer_load_dword v62, off, s[48:51], 0 offset:276 ; 4-byte Folded Reload
	buffer_load_dword v63, off, s[48:51], 0 offset:280 ; 4-byte Folded Reload
	;; [unrolled: 1-line block ×4, first 2 shown]
	s_waitcnt vmcnt(2)
	v_add_f64 v[150:151], v[62:63], v[150:151]
	buffer_load_dword v62, off, s[48:51], 0 offset:212 ; 4-byte Folded Reload
	buffer_load_dword v63, off, s[48:51], 0 offset:216 ; 4-byte Folded Reload
	s_waitcnt vmcnt(2)
	v_add_f64 v[48:49], v[168:169], -v[48:49]
	v_add_f64 v[26:27], v[150:151], v[26:27]
	v_add_f64 v[48:49], v[48:49], v[54:55]
	s_waitcnt vmcnt(0)
	v_add_f64 v[32:33], v[32:33], v[62:63]
	buffer_load_dword v62, off, s[48:51], 0 offset:188 ; 4-byte Folded Reload
	buffer_load_dword v63, off, s[48:51], 0 offset:192 ; 4-byte Folded Reload
	;; [unrolled: 1-line block ×4, first 2 shown]
	s_waitcnt vmcnt(2)
	v_add_f64 v[42:43], v[42:43], v[62:63]
	buffer_load_dword v62, off, s[48:51], 0 offset:284 ; 4-byte Folded Reload
	buffer_load_dword v63, off, s[48:51], 0 offset:288 ; 4-byte Folded Reload
	s_waitcnt vmcnt(2)
	v_add_f64 v[34:35], v[34:35], v[144:145]
	v_add_f64 v[26:27], v[34:35], v[26:27]
	s_waitcnt vmcnt(0)
	v_add_f64 v[60:61], v[60:61], -v[62:63]
	buffer_load_dword v62, off, s[48:51], 0 offset:228 ; 4-byte Folded Reload
	buffer_load_dword v63, off, s[48:51], 0 offset:232 ; 4-byte Folded Reload
	s_waitcnt vmcnt(0)
	v_add_f64 v[32:33], v[32:33], v[62:63]
	buffer_load_dword v62, off, s[48:51], 0 offset:196 ; 4-byte Folded Reload
	buffer_load_dword v63, off, s[48:51], 0 offset:200 ; 4-byte Folded Reload
	;; [unrolled: 1-line block ×6, first 2 shown]
	v_add_f64 v[32:33], v[32:33], v[64:65]
	v_add_f64 v[32:33], v[32:33], v[66:67]
	;; [unrolled: 1-line block ×3, first 2 shown]
	s_waitcnt vmcnt(4)
	v_add_f64 v[42:43], v[42:43], v[62:63]
	s_waitcnt vmcnt(2)
	v_add_f64 v[44:45], v[44:45], v[177:178]
	s_waitcnt vmcnt(0)
	v_add_f64 v[34:35], v[46:47], -v[34:35]
	buffer_load_dword v46, off, s[48:51], 0 offset:204 ; 4-byte Folded Reload
	buffer_load_dword v47, off, s[48:51], 0 offset:208 ; 4-byte Folded Reload
	v_add_f64 v[44:45], v[44:45], v[26:27]
	buffer_load_dword v26, off, s[48:51], 0 offset:220 ; 4-byte Folded Reload
	buffer_load_dword v27, off, s[48:51], 0 offset:224 ; 4-byte Folded Reload
	s_waitcnt vmcnt(2)
	v_add_f64 v[42:43], v[42:43], v[46:47]
	v_add_f64 v[46:47], v[60:61], v[48:49]
	v_add_f64 v[48:49], v[172:173], -v[185:186]
	s_waitcnt vmcnt(0)
	v_add_f64 v[42:43], v[42:43], v[26:27]
	v_add_f64 v[26:27], v[148:149], v[28:29]
	;; [unrolled: 1-line block ×4, first 2 shown]
	buffer_load_dword v41, off, s[48:51], 0 offset:60 ; 4-byte Folded Reload
	v_add_f64 v[46:47], v[34:35], v[46:47]
	v_add_f64 v[34:35], v[36:37], v[44:45]
	;; [unrolled: 1-line block ×4, first 2 shown]
	v_mul_u32_u24_e32 v40, 26, v251
	v_add_f64 v[32:33], v[48:49], v[46:47]
	s_waitcnt vmcnt(0)
	v_or_b32_e32 v40, v40, v41
	v_lshlrev_b32_e32 v40, 4, v40
	ds_write_b128 v40, v[36:39]
	ds_write_b128 v40, v[32:35] offset:32
	ds_write_b128 v40, v[28:31] offset:64
	ds_write_b128 v40, v[24:27] offset:96
	ds_write_b128 v40, v[8:11] offset:128
	ds_write_b128 v40, v[4:7] offset:160
	ds_write_b128 v40, v[0:3] offset:192
	ds_write_b128 v40, v[124:127] offset:224
	ds_write_b128 v40, v[140:143] offset:256
	ds_write_b128 v40, v[136:139] offset:288
	ds_write_b128 v40, v[132:135] offset:320
	ds_write_b128 v40, v[128:131] offset:352
	ds_write_b128 v40, v[120:123] offset:384
.LBB0_11:
	s_or_b64 exec, exec, s[28:29]
	s_movk_i32 s14, 0x4f
	v_mul_lo_u16_sdwa v0, v252, s14 dst_sel:DWORD dst_unused:UNUSED_PAD src0_sel:BYTE_0 src1_sel:DWORD
	v_lshrrev_b16_e32 v11, 11, v0
	v_mul_lo_u16_e32 v0, 26, v11
	v_sub_u16_e32 v0, v252, v0
	v_mov_b32_e32 v10, s5
	v_and_b32_e32 v68, 0xff, v0
	s_movk_i32 s16, 0x60
	v_mov_b32_e32 v9, s4
	v_mad_u64_u32 v[0:1], s[4:5], v68, s16, v[9:10]
	s_waitcnt lgkmcnt(0)
	s_barrier
	global_load_dwordx4 v[36:39], v[0:1], off offset:384
	global_load_dwordx4 v[32:35], v[0:1], off offset:400
	;; [unrolled: 1-line block ×6, first 2 shown]
	ds_read_b128 v[1:4], v255
	ds_read_b128 v[5:8], v255 offset:2912
	ds_read_b128 v[48:51], v255 offset:5824
	;; [unrolled: 1-line block ×6, first 2 shown]
	v_mul_u32_u24_e32 v0, 0xb6, v11
	v_add_lshl_u32 v0, v0, v68, 4
	s_mov_b32 s14, 0x37e14327
	s_mov_b32 s4, 0x36b3c0b5
	;; [unrolled: 1-line block ×20, first 2 shown]
	s_waitcnt vmcnt(0) lgkmcnt(0)
	s_barrier
	s_movk_i32 s33, 0x7000
	v_mul_f64 v[68:69], v[7:8], v[38:39]
	v_mul_f64 v[70:71], v[5:6], v[38:39]
	v_mul_f64 v[144:145], v[50:51], v[34:35]
	v_mul_f64 v[146:147], v[48:49], v[34:35]
	v_mul_f64 v[156:157], v[66:67], v[42:43]
	v_mul_f64 v[158:159], v[64:65], v[42:43]
	v_mul_f64 v[160:161], v[62:63], v[46:47]
	v_mul_f64 v[162:163], v[60:61], v[46:47]
	v_mul_f64 v[148:149], v[54:55], v[30:31]
	v_mul_f64 v[150:151], v[52:53], v[30:31]
	v_mul_f64 v[152:153], v[58:59], v[26:27]
	v_mul_f64 v[154:155], v[56:57], v[26:27]
	v_fma_f64 v[5:6], v[5:6], v[36:37], -v[68:69]
	v_fma_f64 v[7:8], v[7:8], v[36:37], v[70:71]
	v_fma_f64 v[48:49], v[48:49], v[32:33], -v[144:145]
	v_fma_f64 v[50:51], v[50:51], v[32:33], v[146:147]
	;; [unrolled: 2-line block ×6, first 2 shown]
	v_add_f64 v[68:69], v[5:6], v[64:65]
	v_add_f64 v[70:71], v[7:8], v[66:67]
	v_add_f64 v[5:6], v[5:6], -v[64:65]
	v_add_f64 v[7:8], v[7:8], -v[66:67]
	v_add_f64 v[64:65], v[48:49], v[60:61]
	v_add_f64 v[66:67], v[50:51], v[62:63]
	v_add_f64 v[48:49], v[48:49], -v[60:61]
	v_add_f64 v[50:51], v[50:51], -v[62:63]
	;; [unrolled: 4-line block ×4, first 2 shown]
	v_add_f64 v[68:69], v[68:69], -v[60:61]
	v_add_f64 v[70:71], v[70:71], -v[62:63]
	v_add_f64 v[64:65], v[60:61], -v[64:65]
	v_add_f64 v[66:67], v[62:63], -v[66:67]
	v_add_f64 v[148:149], v[52:53], v[48:49]
	v_add_f64 v[150:151], v[54:55], v[50:51]
	v_add_f64 v[152:153], v[52:53], -v[48:49]
	v_add_f64 v[154:155], v[54:55], -v[50:51]
	v_add_f64 v[56:57], v[60:61], v[56:57]
	v_add_f64 v[58:59], v[62:63], v[58:59]
	v_add_f64 v[48:49], v[48:49], -v[5:6]
	v_add_f64 v[50:51], v[50:51], -v[7:8]
	;; [unrolled: 1-line block ×4, first 2 shown]
	v_add_f64 v[5:6], v[148:149], v[5:6]
	v_add_f64 v[7:8], v[150:151], v[7:8]
	v_mul_f64 v[60:61], v[68:69], s[14:15]
	v_mul_f64 v[62:63], v[70:71], s[14:15]
	;; [unrolled: 1-line block ×6, first 2 shown]
	v_add_f64 v[1:2], v[1:2], v[56:57]
	v_add_f64 v[3:4], v[3:4], v[58:59]
	v_mul_f64 v[152:153], v[48:49], s[18:19]
	v_mul_f64 v[154:155], v[50:51], s[18:19]
	v_fma_f64 v[64:65], v[64:65], s[4:5], v[60:61]
	v_fma_f64 v[66:67], v[66:67], s[4:5], v[62:63]
	v_fma_f64 v[68:69], v[144:145], s[24:25], -v[68:69]
	v_fma_f64 v[70:71], v[146:147], s[24:25], -v[70:71]
	;; [unrolled: 1-line block ×4, first 2 shown]
	v_fma_f64 v[144:145], v[52:53], s[28:29], v[148:149]
	v_fma_f64 v[146:147], v[54:55], s[28:29], v[150:151]
	v_fma_f64 v[56:57], v[56:57], s[20:21], v[1:2]
	v_fma_f64 v[58:59], v[58:59], s[20:21], v[3:4]
	v_fma_f64 v[52:53], v[52:53], s[30:31], -v[152:153]
	v_fma_f64 v[54:55], v[54:55], s[30:31], -v[154:155]
	;; [unrolled: 1-line block ×4, first 2 shown]
	v_fma_f64 v[144:145], v[5:6], s[34:35], v[144:145]
	v_fma_f64 v[146:147], v[7:8], s[34:35], v[146:147]
	v_add_f64 v[64:65], v[64:65], v[56:57]
	v_add_f64 v[66:67], v[66:67], v[58:59]
	v_fma_f64 v[152:153], v[5:6], s[34:35], v[52:53]
	v_fma_f64 v[154:155], v[7:8], s[34:35], v[54:55]
	v_add_f64 v[60:61], v[60:61], v[56:57]
	v_add_f64 v[62:63], v[62:63], v[58:59]
	;; [unrolled: 4-line block ×3, first 2 shown]
	v_add_f64 v[5:6], v[146:147], v[64:65]
	v_add_f64 v[7:8], v[66:67], -v[144:145]
	v_add_f64 v[48:49], v[154:155], v[60:61]
	v_add_f64 v[50:51], v[62:63], -v[152:153]
	v_add_f64 v[60:61], v[60:61], -v[154:155]
	v_add_f64 v[62:63], v[152:153], v[62:63]
	v_add_f64 v[52:53], v[56:57], -v[150:151]
	v_add_f64 v[54:55], v[148:149], v[58:59]
	v_add_f64 v[56:57], v[150:151], v[56:57]
	v_add_f64 v[58:59], v[58:59], -v[148:149]
	v_add_f64 v[64:65], v[64:65], -v[146:147]
	v_add_f64 v[66:67], v[144:145], v[66:67]
	ds_write_b128 v0, v[1:4]
	ds_write_b128 v0, v[5:8] offset:416
	ds_write_b128 v0, v[48:51] offset:832
	;; [unrolled: 1-line block ×6, first 2 shown]
	v_mad_u64_u32 v[1:2], s[36:37], v252, s16, v[9:10]
	s_waitcnt lgkmcnt(0)
	s_barrier
	global_load_dwordx4 v[60:63], v[1:2], off offset:2880
	global_load_dwordx4 v[56:59], v[1:2], off offset:2896
	;; [unrolled: 1-line block ×6, first 2 shown]
	v_mov_b32_e32 v1, s17
	v_addc_co_u32_e64 v11, vcc, 0, v1, s[6:7]
	ds_read_b128 v[1:4], v255
	ds_read_b128 v[5:8], v255 offset:2912
	ds_read_b128 v[146:149], v255 offset:5824
	;; [unrolled: 1-line block ×6, first 2 shown]
	s_movk_i32 s17, 0x4fa0
	v_add_co_u32_e32 v144, vcc, s17, v176
	s_movk_i32 s16, 0x4000
	v_addc_co_u32_e32 v145, vcc, 0, v11, vcc
	s_mov_b32 s36, 0x8000
	s_waitcnt vmcnt(5) lgkmcnt(5)
	v_mul_f64 v[9:10], v[7:8], v[62:63]
	v_mul_f64 v[166:167], v[5:6], v[62:63]
	s_waitcnt vmcnt(4) lgkmcnt(4)
	v_mul_f64 v[168:169], v[148:149], v[58:59]
	v_mul_f64 v[170:171], v[146:147], v[58:59]
	;; [unrolled: 3-line block ×3, first 2 shown]
	s_waitcnt vmcnt(0)
	v_mul_f64 v[185:186], v[160:161], v[70:71]
	v_mul_f64 v[187:188], v[158:159], v[70:71]
	;; [unrolled: 1-line block ×6, first 2 shown]
	v_fma_f64 v[5:6], v[5:6], v[60:61], -v[9:10]
	v_fma_f64 v[7:8], v[7:8], v[60:61], v[166:167]
	v_fma_f64 v[9:10], v[146:147], v[56:57], -v[168:169]
	v_fma_f64 v[146:147], v[148:149], v[56:57], v[170:171]
	;; [unrolled: 2-line block ×6, first 2 shown]
	v_add_f64 v[164:165], v[5:6], v[148:149]
	v_add_f64 v[166:167], v[7:8], v[162:163]
	v_add_f64 v[5:6], v[5:6], -v[148:149]
	v_add_f64 v[7:8], v[7:8], -v[162:163]
	v_add_f64 v[148:149], v[9:10], v[158:159]
	v_add_f64 v[162:163], v[146:147], v[160:161]
	v_add_f64 v[9:10], v[9:10], -v[158:159]
	v_add_f64 v[146:147], v[146:147], -v[160:161]
	v_add_f64 v[158:159], v[150:151], v[154:155]
	v_add_f64 v[160:161], v[152:153], v[156:157]
	v_add_f64 v[150:151], v[154:155], -v[150:151]
	v_add_f64 v[152:153], v[156:157], -v[152:153]
	v_add_f64 v[154:155], v[148:149], v[164:165]
	v_add_f64 v[156:157], v[162:163], v[166:167]
	v_add_f64 v[168:169], v[148:149], -v[164:165]
	v_add_f64 v[170:171], v[162:163], -v[166:167]
	v_add_f64 v[164:165], v[164:165], -v[158:159]
	v_add_f64 v[166:167], v[166:167], -v[160:161]
	;; [unrolled: 1-line block ×4, first 2 shown]
	v_add_f64 v[172:173], v[150:151], v[9:10]
	v_add_f64 v[174:175], v[152:153], v[146:147]
	v_add_f64 v[177:178], v[150:151], -v[9:10]
	v_add_f64 v[179:180], v[152:153], -v[146:147]
	v_add_f64 v[154:155], v[158:159], v[154:155]
	v_add_f64 v[156:157], v[160:161], v[156:157]
	v_add_f64 v[9:10], v[9:10], -v[5:6]
	v_add_f64 v[146:147], v[146:147], -v[7:8]
	;; [unrolled: 1-line block ×4, first 2 shown]
	v_add_f64 v[5:6], v[172:173], v[5:6]
	v_add_f64 v[7:8], v[174:175], v[7:8]
	v_mul_f64 v[158:159], v[164:165], s[14:15]
	v_mul_f64 v[160:161], v[166:167], s[14:15]
	;; [unrolled: 1-line block ×6, first 2 shown]
	v_add_f64 v[1:2], v[1:2], v[154:155]
	v_add_f64 v[3:4], v[3:4], v[156:157]
	v_mul_f64 v[177:178], v[9:10], s[18:19]
	v_mul_f64 v[179:180], v[146:147], s[18:19]
	v_fma_f64 v[148:149], v[148:149], s[4:5], v[158:159]
	v_fma_f64 v[162:163], v[162:163], s[4:5], v[160:161]
	v_fma_f64 v[164:165], v[168:169], s[24:25], -v[164:165]
	v_fma_f64 v[166:167], v[170:171], s[24:25], -v[166:167]
	;; [unrolled: 1-line block ×4, first 2 shown]
	v_fma_f64 v[168:169], v[150:151], s[28:29], v[172:173]
	v_fma_f64 v[170:171], v[152:153], s[28:29], v[174:175]
	;; [unrolled: 1-line block ×4, first 2 shown]
	v_fma_f64 v[150:151], v[150:151], s[30:31], -v[177:178]
	v_fma_f64 v[152:153], v[152:153], s[30:31], -v[179:180]
	;; [unrolled: 1-line block ×4, first 2 shown]
	v_fma_f64 v[168:169], v[5:6], s[34:35], v[168:169]
	v_fma_f64 v[170:171], v[7:8], s[34:35], v[170:171]
	v_add_f64 v[179:180], v[148:149], v[154:155]
	v_add_f64 v[162:163], v[162:163], v[156:157]
	v_fma_f64 v[174:175], v[5:6], s[34:35], v[150:151]
	v_fma_f64 v[177:178], v[7:8], s[34:35], v[152:153]
	v_add_f64 v[158:159], v[158:159], v[154:155]
	v_add_f64 v[160:161], v[160:161], v[156:157]
	;; [unrolled: 4-line block ×3, first 2 shown]
	v_add_f64 v[5:6], v[170:171], v[179:180]
	v_add_f64 v[7:8], v[162:163], -v[168:169]
	v_add_f64 v[146:147], v[177:178], v[158:159]
	v_add_f64 v[148:149], v[160:161], -v[174:175]
	v_add_co_u32_e32 v181, vcc, s16, v176
	v_add_f64 v[150:151], v[164:165], -v[172:173]
	v_add_f64 v[152:153], v[9:10], v[166:167]
	v_add_f64 v[154:155], v[172:173], v[164:165]
	v_add_f64 v[156:157], v[166:167], -v[9:10]
	v_addc_co_u32_e32 v182, vcc, 0, v11, vcc
	v_add_f64 v[164:165], v[158:159], -v[177:178]
	v_add_f64 v[166:167], v[174:175], v[160:161]
	v_add_f64 v[160:161], v[179:180], -v[170:171]
	v_add_f64 v[162:163], v[168:169], v[162:163]
	v_add_co_u32_e32 v9, vcc, s33, v176
	v_addc_co_u32_e32 v10, vcc, 0, v11, vcc
	ds_write_b128 v255, v[1:4]
	ds_write_b128 v255, v[5:8] offset:2912
	ds_write_b128 v255, v[146:149] offset:5824
	ds_write_b128 v255, v[150:153] offset:8736
	ds_write_b128 v255, v[154:157] offset:11648
	ds_write_b128 v255, v[164:167] offset:14560
	ds_write_b128 v255, v[160:163] offset:17472
	s_waitcnt lgkmcnt(0)
	s_barrier
	global_load_dwordx4 v[1:4], v[181:182], off offset:4000
	global_load_dwordx4 v[5:8], v[144:145], off offset:2912
	v_add_co_u32_e32 v158, vcc, s36, v176
	v_addc_co_u32_e32 v159, vcc, 0, v11, vcc
	global_load_dwordx4 v[146:149], v[9:10], off offset:1904
	global_load_dwordx4 v[150:153], v[158:159], off offset:720
	s_movk_i32 s4, 0x6000
	v_add_co_u32_e32 v9, vcc, s4, v176
	v_addc_co_u32_e32 v10, vcc, 0, v11, vcc
	global_load_dwordx4 v[154:157], v[9:10], off offset:1632
	global_load_dwordx4 v[164:167], v[158:159], off offset:3632
	ds_read_b128 v[168:171], v255
	ds_read_b128 v[172:175], v255 offset:2912
	ds_read_b128 v[177:180], v255 offset:10192
	;; [unrolled: 1-line block ×5, first 2 shown]
	s_waitcnt vmcnt(5) lgkmcnt(5)
	v_mul_f64 v[9:10], v[170:171], v[3:4]
	v_mul_f64 v[3:4], v[168:169], v[3:4]
	s_waitcnt vmcnt(4) lgkmcnt(4)
	v_mul_f64 v[193:194], v[174:175], v[7:8]
	v_mul_f64 v[195:196], v[172:173], v[7:8]
	;; [unrolled: 3-line block ×4, first 2 shown]
	v_fma_f64 v[7:8], v[168:169], v[1:2], -v[9:10]
	v_fma_f64 v[9:10], v[170:171], v[1:2], v[3:4]
	s_waitcnt vmcnt(1)
	v_mul_f64 v[199:200], v[183:184], v[156:157]
	v_mul_f64 v[201:202], v[181:182], v[156:157]
	s_waitcnt vmcnt(0) lgkmcnt(0)
	v_mul_f64 v[203:204], v[191:192], v[166:167]
	v_mul_f64 v[205:206], v[189:190], v[166:167]
	v_fma_f64 v[1:2], v[177:178], v[146:147], -v[158:159]
	v_fma_f64 v[3:4], v[179:180], v[146:147], v[148:149]
	v_fma_f64 v[146:147], v[172:173], v[5:6], -v[193:194]
	v_fma_f64 v[148:149], v[174:175], v[5:6], v[195:196]
	;; [unrolled: 2-line block ×5, first 2 shown]
	ds_write_b128 v255, v[7:10]
	ds_write_b128 v255, v[1:4] offset:10192
	ds_write_b128 v255, v[146:149] offset:2912
	;; [unrolled: 1-line block ×5, first 2 shown]
	s_and_saveexec_b64 s[4:5], s[0:1]
	s_cbranch_execz .LBB0_13
; %bb.12:
	v_add_co_u32_e32 v1, vcc, 0x2000, v144
	v_addc_co_u32_e32 v2, vcc, 0, v145, vcc
	v_add_co_u32_e32 v5, vcc, s16, v144
	global_load_dwordx4 v[1:4], v[1:2], off offset:544
	v_addc_co_u32_e32 v6, vcc, 0, v145, vcc
	global_load_dwordx4 v[5:8], v[5:6], off offset:2544
	ds_read_b128 v[144:147], v255 offset:8736
	ds_read_b128 v[148:151], v255 offset:18928
	s_waitcnt vmcnt(1) lgkmcnt(1)
	v_mul_f64 v[9:10], v[146:147], v[3:4]
	v_mul_f64 v[3:4], v[144:145], v[3:4]
	s_waitcnt vmcnt(0) lgkmcnt(0)
	v_mul_f64 v[152:153], v[150:151], v[7:8]
	v_mul_f64 v[154:155], v[148:149], v[7:8]
	v_fma_f64 v[7:8], v[144:145], v[1:2], -v[9:10]
	v_fma_f64 v[9:10], v[146:147], v[1:2], v[3:4]
	v_fma_f64 v[1:2], v[148:149], v[5:6], -v[152:153]
	v_fma_f64 v[3:4], v[150:151], v[5:6], v[154:155]
	ds_write_b128 v255, v[7:10] offset:8736
	ds_write_b128 v255, v[1:4] offset:18928
.LBB0_13:
	s_or_b64 exec, exec, s[4:5]
	s_waitcnt lgkmcnt(0)
	s_barrier
	ds_read_b128 v[152:155], v255
	ds_read_b128 v[156:159], v255 offset:2912
	ds_read_b128 v[144:147], v255 offset:10192
	;; [unrolled: 1-line block ×5, first 2 shown]
	buffer_load_dword v1, off, s[48:51], 0 offset:72 ; 4-byte Folded Reload
	s_waitcnt vmcnt(0)
	v_add_u32_e32 v2, 0x16c0, v1
	v_add_u32_e32 v1, 0x2d80, v1
	s_and_saveexec_b64 s[4:5], s[0:1]
	s_cbranch_execz .LBB0_15
; %bb.14:
	ds_read_b128 v[160:163], v255 offset:8736
	ds_read_b128 v[124:127], v255 offset:18928
.LBB0_15:
	s_or_b64 exec, exec, s[4:5]
	s_waitcnt lgkmcnt(0)
	s_barrier
	buffer_load_dword v3, off, s[48:51], 0 offset:68 ; 4-byte Folded Reload
	v_add_f64 v[144:145], v[152:153], -v[144:145]
	v_add_f64 v[146:147], v[154:155], -v[146:147]
	;; [unrolled: 1-line block ×8, first 2 shown]
	v_fma_f64 v[124:125], v[152:153], 2.0, -v[144:145]
	v_fma_f64 v[126:127], v[154:155], 2.0, -v[146:147]
	;; [unrolled: 1-line block ×8, first 2 shown]
	s_waitcnt vmcnt(0)
	ds_write_b128 v3, v[124:127]
	ds_write_b128 v3, v[144:147] offset:16
	ds_write_b128 v2, v[152:155]
	ds_write_b128 v2, v[148:151] offset:16
	;; [unrolled: 2-line block ×3, first 2 shown]
	s_and_saveexec_b64 s[4:5], s[0:1]
	s_cbranch_execz .LBB0_17
; %bb.16:
	buffer_load_dword v1, off, s[48:51], 0 offset:64 ; 4-byte Folded Reload
	s_waitcnt vmcnt(0)
	ds_write_b128 v1, v[160:163]
	ds_write_b128 v1, v[168:171] offset:16
.LBB0_17:
	s_or_b64 exec, exec, s[4:5]
	s_waitcnt lgkmcnt(0)
	s_barrier
	s_and_saveexec_b64 s[4:5], s[2:3]
	s_cbranch_execz .LBB0_19
; %bb.18:
	ds_read_b128 v[124:127], v255
	ds_read_b128 v[144:147], v255 offset:1568
	ds_read_b128 v[152:155], v255 offset:3136
	;; [unrolled: 1-line block ×12, first 2 shown]
.LBB0_19:
	s_or_b64 exec, exec, s[4:5]
	s_waitcnt lgkmcnt(0)
	s_barrier
	s_and_saveexec_b64 s[4:5], s[2:3]
	s_cbranch_execz .LBB0_21
; %bb.20:
	v_mul_f64 v[1:2], v[114:115], v[162:163]
	v_mul_f64 v[3:4], v[102:103], v[166:167]
	;; [unrolled: 1-line block ×6, first 2 shown]
	s_mov_b32 s26, 0x4bc48dbf
	s_mov_b32 s27, 0xbfcea1e5
	v_fma_f64 v[174:175], v[112:113], v[160:161], v[1:2]
	v_mul_f64 v[1:2], v[118:119], v[170:171]
	v_fma_f64 v[158:159], v[88:89], v[158:159], -v[7:8]
	v_mul_f64 v[7:8], v[106:107], v[136:137]
	s_mov_b32 s30, 0x93053d00
	v_fma_f64 v[150:151], v[80:81], v[150:151], -v[82:83]
	v_mul_f64 v[82:83], v[78:79], v[154:155]
	v_mul_f64 v[78:79], v[78:79], v[152:153]
	s_mov_b32 s25, 0x3fddbe06
	v_fma_f64 v[172:173], v[116:117], v[168:169], v[1:2]
	v_mul_f64 v[1:2], v[114:115], v[160:161]
	s_mov_b32 s24, 0x4267c47c
	s_mov_b32 s31, 0xbfef11f4
	;; [unrolled: 1-line block ×7, first 2 shown]
	v_fma_f64 v[160:161], v[112:113], v[162:163], -v[1:2]
	v_mul_f64 v[1:2], v[118:119], v[168:169]
	v_fma_f64 v[118:119], v[100:101], v[164:165], v[3:4]
	v_mul_f64 v[3:4], v[110:111], v[142:143]
	s_mov_b32 s18, 0xd0032e0c
	s_mov_b32 s39, 0x3fea55e2
	;; [unrolled: 1-line block ×5, first 2 shown]
	v_fma_f64 v[162:163], v[116:117], v[170:171], -v[1:2]
	s_mov_b32 s7, 0xbfedeba7
	v_fma_f64 v[116:117], v[108:109], v[140:141], v[3:4]
	v_mul_f64 v[3:4], v[102:103], v[164:165]
	s_mov_b32 s17, 0x3fe22d96
	v_add_f64 v[177:178], v[174:175], -v[172:173]
	s_mov_b32 s28, 0x66966769
	s_mov_b32 s14, 0xb2365da1
	s_mov_b32 s29, 0x3fefc445
	s_mov_b32 s15, 0xbfd6b1d8
	v_add_f64 v[112:113], v[118:119], -v[116:117]
	v_fma_f64 v[164:165], v[100:101], v[166:167], -v[3:4]
	v_mul_f64 v[3:4], v[110:111], v[140:141]
	v_mul_f64 v[213:214], v[177:178], s[28:29]
	v_add_f64 v[168:169], v[160:161], v[162:163]
	s_mov_b32 s2, 0xebaa3ed8
	s_mov_b32 s3, 0x3fbedb7d
	v_add_f64 v[201:202], v[160:161], -v[162:163]
	v_mul_f64 v[215:216], v[112:113], s[6:7]
	v_add_f64 v[191:192], v[118:119], v[116:117]
	v_fma_f64 v[166:167], v[108:109], v[142:143], -v[3:4]
	v_fma_f64 v[142:143], v[88:89], v[156:157], v[5:6]
	v_mul_f64 v[5:6], v[106:107], v[138:139]
	v_fma_f64 v[156:157], v[104:105], v[138:139], -v[7:8]
	v_fma_f64 v[138:139], v[80:81], v[148:149], v[9:10]
	v_mul_f64 v[80:81], v[98:99], v[132:133]
	v_mul_f64 v[9:10], v[98:99], v[134:135]
	v_fma_f64 v[1:2], v[168:169], s[2:3], v[213:214]
	v_add_f64 v[170:171], v[164:165], v[166:167]
	v_add_f64 v[203:204], v[164:165], -v[166:167]
	v_fma_f64 v[140:141], v[104:105], v[136:137], v[5:6]
	v_add_f64 v[179:180], v[158:159], v[156:157]
	v_add_f64 v[205:206], v[158:159], -v[156:157]
	v_fma_f64 v[148:149], v[96:97], v[134:135], -v[80:81]
	v_fma_f64 v[134:135], v[76:77], v[152:153], v[82:83]
	v_fma_f64 v[152:153], v[76:77], v[154:155], -v[78:79]
	v_mul_f64 v[78:79], v[74:75], v[146:147]
	v_mul_f64 v[82:83], v[94:95], v[130:131]
	;; [unrolled: 1-line block ×3, first 2 shown]
	v_fma_f64 v[136:137], v[96:97], v[132:133], v[9:10]
	v_mul_f64 v[76:77], v[94:95], v[128:129]
	v_add_f64 v[114:115], v[142:143], -v[140:141]
	v_add_f64 v[181:182], v[150:151], v[148:149]
	v_add_f64 v[207:208], v[150:151], -v[148:149]
	v_fma_f64 v[154:155], v[72:73], v[144:145], v[78:79]
	v_mul_f64 v[78:79], v[86:87], v[122:123]
	v_fma_f64 v[132:133], v[92:93], v[128:129], v[82:83]
	v_fma_f64 v[144:145], v[72:73], v[146:147], -v[74:75]
	v_mul_f64 v[72:73], v[86:87], v[120:121]
	v_fma_f64 v[130:131], v[92:93], v[130:131], -v[76:77]
	v_add_f64 v[185:186], v[138:139], -v[136:137]
	v_mul_f64 v[5:6], v[114:115], s[38:39]
	v_add_f64 v[195:196], v[138:139], v[136:137]
	v_fma_f64 v[128:129], v[84:85], v[120:121], v[78:79]
	v_add_f64 v[187:188], v[134:135], -v[132:133]
	v_add_f64 v[197:198], v[134:135], v[132:133]
	v_fma_f64 v[120:121], v[84:85], v[122:123], -v[72:73]
	v_add_f64 v[183:184], v[152:153], v[130:131]
	v_mul_f64 v[9:10], v[185:186], s[22:23]
	v_add_f64 v[209:210], v[152:153], -v[130:131]
	v_fma_f64 v[7:8], v[179:180], s[16:17], v[5:6]
	v_add_f64 v[189:190], v[154:155], -v[128:129]
	v_mul_f64 v[82:83], v[187:188], s[24:25]
	v_add_f64 v[199:200], v[154:155], v[128:129]
	v_add_f64 v[122:123], v[144:145], v[120:121]
	v_add_f64 v[211:212], v[144:145], -v[120:121]
	v_fma_f64 v[80:81], v[181:182], s[18:19], v[9:10]
	v_mul_f64 v[88:89], v[209:210], s[24:25]
	v_mul_f64 v[84:85], v[207:208], s[22:23]
	;; [unrolled: 1-line block ×3, first 2 shown]
	v_fma_f64 v[76:77], v[183:184], s[20:21], v[82:83]
	v_fma_f64 v[3:4], v[170:171], s[14:15], v[215:216]
	v_add_f64 v[193:194], v[142:143], v[140:141]
	v_mul_f64 v[92:93], v[211:212], s[26:27]
	v_fma_f64 v[82:83], v[183:184], s[20:21], -v[82:83]
	v_fma_f64 v[90:91], v[197:198], s[20:21], -v[88:89]
	v_fma_f64 v[86:87], v[195:196], s[18:19], -v[84:85]
	v_fma_f64 v[72:73], v[122:123], s[30:31], v[78:79]
	v_fma_f64 v[78:79], v[122:123], s[30:31], -v[78:79]
	v_fma_f64 v[9:10], v[181:182], s[18:19], -v[9:10]
	v_add_f64 v[146:147], v[174:175], v[172:173]
	v_fma_f64 v[94:95], v[199:200], s[30:31], -v[92:93]
	v_fma_f64 v[5:6], v[179:180], s[16:17], -v[5:6]
	s_mov_b32 s35, 0xbfea55e2
	s_mov_b32 s34, s38
	v_add_f64 v[72:73], v[126:127], v[72:73]
	v_add_f64 v[78:79], v[126:127], v[78:79]
	v_mul_f64 v[104:105], v[211:212], s[22:23]
	s_mov_b32 s43, 0x3fcea1e5
	v_add_f64 v[94:95], v[124:125], v[94:95]
	s_mov_b32 s42, s26
	v_mul_f64 v[100:101], v[209:210], s[28:29]
	v_mul_f64 v[96:97], v[207:208], s[34:35]
	v_add_f64 v[72:73], v[76:77], v[72:73]
	v_mul_f64 v[76:77], v[205:206], s[38:39]
	v_add_f64 v[78:79], v[82:83], v[78:79]
	v_fma_f64 v[106:107], v[199:200], s[18:19], -v[104:105]
	v_add_f64 v[90:91], v[90:91], v[94:95]
	s_mov_b32 s41, 0x3fe5384d
	v_fma_f64 v[102:103], v[197:198], s[2:3], -v[100:101]
	v_fma_f64 v[98:99], v[195:196], s[16:17], -v[96:97]
	v_add_f64 v[72:73], v[80:81], v[72:73]
	v_fma_f64 v[80:81], v[193:194], s[16:17], -v[76:77]
	v_add_f64 v[9:10], v[9:10], v[78:79]
	v_add_f64 v[106:107], v[124:125], v[106:107]
	;; [unrolled: 1-line block ×3, first 2 shown]
	v_mul_f64 v[90:91], v[189:190], s[22:23]
	s_mov_b32 s40, s22
	s_mov_b32 s37, 0xbfefc445
	v_add_f64 v[7:8], v[7:8], v[72:73]
	s_mov_b32 s36, s28
	v_add_f64 v[5:6], v[5:6], v[9:10]
	v_fma_f64 v[9:10], v[197:198], s[20:21], v[88:89]
	v_add_f64 v[80:81], v[80:81], v[86:87]
	v_mul_f64 v[86:87], v[187:188], s[28:29]
	v_add_f64 v[102:103], v[102:103], v[106:107]
	v_mul_f64 v[108:109], v[209:210], s[40:41]
	;; [unrolled: 2-line block ×3, first 2 shown]
	v_mul_f64 v[221:222], v[211:212], s[36:37]
	v_mul_f64 v[217:218], v[209:210], s[26:27]
	;; [unrolled: 1-line block ×3, first 2 shown]
	v_fma_f64 v[88:89], v[183:184], s[2:3], v[86:87]
	v_add_f64 v[98:99], v[98:99], v[102:103]
	v_fma_f64 v[110:111], v[197:198], s[18:19], -v[108:109]
	v_add_f64 v[74:75], v[1:2], v[3:4]
	v_mul_f64 v[1:2], v[201:202], s[28:29]
	v_fma_f64 v[72:73], v[191:192], s[14:15], -v[7:8]
	v_fma_f64 v[223:224], v[199:200], s[2:3], -v[221:222]
	;; [unrolled: 1-line block ×3, first 2 shown]
	v_mul_f64 v[225:226], v[209:210], s[6:7]
	v_fma_f64 v[231:232], v[199:200], s[16:17], -v[229:230]
	v_mul_f64 v[209:210], v[209:210], s[34:35]
	v_fma_f64 v[3:4], v[146:147], s[2:3], -v[1:2]
	v_add_f64 v[72:73], v[72:73], v[80:81]
	v_fma_f64 v[80:81], v[170:171], s[14:15], -v[215:216]
	v_fma_f64 v[1:2], v[146:147], s[2:3], v[1:2]
	v_add_f64 v[223:224], v[124:125], v[223:224]
	v_fma_f64 v[227:228], v[197:198], s[14:15], -v[225:226]
	v_add_f64 v[231:232], v[124:125], v[231:232]
	v_add_f64 v[72:73], v[3:4], v[72:73]
	v_fma_f64 v[3:4], v[168:169], s[2:3], -v[213:214]
	v_add_f64 v[5:6], v[80:81], v[5:6]
	v_mul_f64 v[213:214], v[211:212], s[6:7]
	v_add_f64 v[219:220], v[219:220], v[223:224]
	v_add_f64 v[227:228], v[227:228], v[231:232]
	;; [unrolled: 1-line block ×3, first 2 shown]
	v_fma_f64 v[5:6], v[193:194], s[16:17], v[76:77]
	v_fma_f64 v[76:77], v[199:200], s[30:31], v[92:93]
	;; [unrolled: 1-line block ×5, first 2 shown]
	v_mul_f64 v[84:85], v[185:186], s[34:35]
	v_fma_f64 v[215:216], v[199:200], s[14:15], -v[213:214]
	v_add_f64 v[76:77], v[124:125], v[76:77]
	v_add_f64 v[92:93], v[126:127], v[92:93]
	v_fma_f64 v[82:83], v[181:182], s[16:17], v[84:85]
	v_add_f64 v[215:216], v[124:125], v[215:216]
	v_add_f64 v[9:10], v[9:10], v[76:77]
	;; [unrolled: 1-line block ×3, first 2 shown]
	v_mul_f64 v[92:93], v[205:206], s[42:43]
	v_add_f64 v[110:111], v[110:111], v[215:216]
	v_add_f64 v[7:8], v[7:8], v[9:10]
	v_mul_f64 v[9:10], v[114:115], s[42:43]
	v_add_f64 v[82:83], v[82:83], v[88:89]
	v_mul_f64 v[88:89], v[203:204], s[24:25]
	v_fma_f64 v[94:95], v[193:194], s[30:31], -v[92:93]
	v_add_f64 v[5:6], v[5:6], v[7:8]
	v_fma_f64 v[80:81], v[179:180], s[30:31], v[9:10]
	v_add_f64 v[94:95], v[94:95], v[98:99]
	v_mul_f64 v[98:99], v[189:190], s[6:7]
	v_add_f64 v[3:4], v[3:4], v[5:6]
	v_mul_f64 v[5:6], v[112:113], s[24:25]
	v_add_f64 v[80:81], v[80:81], v[82:83]
	v_add_f64 v[76:77], v[1:2], v[3:4]
	v_mul_f64 v[1:2], v[177:178], s[6:7]
	v_fma_f64 v[7:8], v[170:171], s[20:21], v[5:6]
	v_fma_f64 v[5:6], v[170:171], s[20:21], -v[5:6]
	v_fma_f64 v[3:4], v[168:169], s[14:15], v[1:2]
	v_add_f64 v[7:8], v[7:8], v[80:81]
	v_fma_f64 v[80:81], v[191:192], s[20:21], -v[88:89]
	v_fma_f64 v[1:2], v[168:169], s[14:15], -v[1:2]
	v_add_f64 v[82:83], v[3:4], v[7:8]
	v_mul_f64 v[3:4], v[201:202], s[6:7]
	v_add_f64 v[80:81], v[80:81], v[94:95]
	v_mul_f64 v[94:95], v[187:188], s[40:41]
	v_fma_f64 v[7:8], v[146:147], s[14:15], -v[3:4]
	v_add_f64 v[80:81], v[7:8], v[80:81]
	v_fma_f64 v[7:8], v[179:180], s[30:31], -v[9:10]
	v_fma_f64 v[9:10], v[181:182], s[16:17], -v[84:85]
	;; [unrolled: 1-line block ×4, first 2 shown]
	v_add_f64 v[86:87], v[126:127], v[86:87]
	v_add_f64 v[84:85], v[84:85], v[86:87]
	;; [unrolled: 1-line block ×3, first 2 shown]
	v_fma_f64 v[84:85], v[199:200], s[18:19], v[104:105]
	v_mul_f64 v[104:105], v[207:208], s[24:25]
	v_add_f64 v[7:8], v[7:8], v[9:10]
	v_fma_f64 v[9:10], v[197:198], s[2:3], v[100:101]
	v_add_f64 v[84:85], v[124:125], v[84:85]
	v_fma_f64 v[100:101], v[122:123], s[14:15], v[98:99]
	v_fma_f64 v[106:107], v[195:196], s[20:21], -v[104:105]
	v_add_f64 v[5:6], v[5:6], v[7:8]
	v_fma_f64 v[7:8], v[195:196], s[16:17], v[96:97]
	v_add_f64 v[9:10], v[9:10], v[84:85]
	v_fma_f64 v[96:97], v[183:184], s[18:19], v[94:95]
	v_add_f64 v[100:101], v[126:127], v[100:101]
	v_add_f64 v[106:107], v[106:107], v[110:111]
	;; [unrolled: 1-line block ×3, first 2 shown]
	v_fma_f64 v[5:6], v[193:194], s[30:31], v[92:93]
	v_add_f64 v[7:8], v[7:8], v[9:10]
	v_mul_f64 v[92:93], v[185:186], s[24:25]
	v_fma_f64 v[1:2], v[146:147], s[14:15], v[3:4]
	v_fma_f64 v[3:4], v[191:192], s[20:21], v[88:89]
	v_mul_f64 v[9:10], v[114:115], s[36:37]
	v_add_f64 v[96:97], v[96:97], v[100:101]
	v_mul_f64 v[100:101], v[205:206], s[36:37]
	v_add_f64 v[5:6], v[5:6], v[7:8]
	v_fma_f64 v[90:91], v[181:182], s[20:21], v[92:93]
	v_fma_f64 v[88:89], v[179:180], s[2:3], v[9:10]
	v_fma_f64 v[102:103], v[193:194], s[2:3], -v[100:101]
	v_add_f64 v[3:4], v[3:4], v[5:6]
	v_mul_f64 v[5:6], v[112:113], s[42:43]
	v_add_f64 v[90:91], v[90:91], v[96:97]
	v_mul_f64 v[96:97], v[203:204], s[42:43]
	;; [unrolled: 2-line block ×4, first 2 shown]
	v_fma_f64 v[7:8], v[170:171], s[30:31], v[5:6]
	v_add_f64 v[88:89], v[88:89], v[90:91]
	v_fma_f64 v[5:6], v[170:171], s[30:31], -v[5:6]
	v_fma_f64 v[3:4], v[168:169], s[16:17], v[1:2]
	v_fma_f64 v[1:2], v[168:169], s[16:17], -v[1:2]
	v_add_f64 v[7:8], v[7:8], v[88:89]
	v_fma_f64 v[88:89], v[191:192], s[30:31], -v[96:97]
	v_add_f64 v[90:91], v[3:4], v[7:8]
	v_mul_f64 v[3:4], v[201:202], s[38:39]
	v_add_f64 v[88:89], v[88:89], v[102:103]
	v_mul_f64 v[102:103], v[187:188], s[26:27]
	s_mov_b32 s39, 0x3fedeba7
	s_mov_b32 s38, s6
	v_fma_f64 v[7:8], v[146:147], s[16:17], -v[3:4]
	v_add_f64 v[88:89], v[7:8], v[88:89]
	v_fma_f64 v[7:8], v[179:180], s[2:3], -v[9:10]
	v_fma_f64 v[9:10], v[181:182], s[20:21], -v[92:93]
	;; [unrolled: 1-line block ×4, first 2 shown]
	v_add_f64 v[94:95], v[126:127], v[94:95]
	v_add_f64 v[92:93], v[92:93], v[94:95]
	;; [unrolled: 1-line block ×3, first 2 shown]
	v_fma_f64 v[92:93], v[199:200], s[14:15], v[213:214]
	v_mul_f64 v[213:214], v[207:208], s[38:39]
	v_add_f64 v[7:8], v[7:8], v[9:10]
	v_fma_f64 v[9:10], v[197:198], s[18:19], v[108:109]
	v_add_f64 v[92:93], v[124:125], v[92:93]
	v_fma_f64 v[108:109], v[122:123], s[2:3], v[106:107]
	v_fma_f64 v[215:216], v[195:196], s[14:15], -v[213:214]
	v_add_f64 v[5:6], v[5:6], v[7:8]
	v_fma_f64 v[7:8], v[195:196], s[20:21], v[104:105]
	v_add_f64 v[9:10], v[9:10], v[92:93]
	v_fma_f64 v[104:105], v[183:184], s[30:31], v[102:103]
	v_add_f64 v[108:109], v[126:127], v[108:109]
	v_add_f64 v[215:216], v[215:216], v[219:220]
	;; [unrolled: 1-line block ×3, first 2 shown]
	v_fma_f64 v[5:6], v[193:194], s[2:3], v[100:101]
	v_add_f64 v[7:8], v[7:8], v[9:10]
	v_mul_f64 v[100:101], v[185:186], s[38:39]
	v_fma_f64 v[1:2], v[146:147], s[16:17], v[3:4]
	v_fma_f64 v[3:4], v[191:192], s[30:31], v[96:97]
	v_mul_f64 v[9:10], v[114:115], s[24:25]
	v_add_f64 v[104:105], v[104:105], v[108:109]
	v_mul_f64 v[108:109], v[205:206], s[24:25]
	v_add_f64 v[5:6], v[5:6], v[7:8]
	v_fma_f64 v[98:99], v[181:182], s[14:15], v[100:101]
	v_fma_f64 v[96:97], v[179:180], s[20:21], v[9:10]
	v_fma_f64 v[110:111], v[193:194], s[20:21], -v[108:109]
	v_add_f64 v[3:4], v[3:4], v[5:6]
	v_mul_f64 v[5:6], v[112:113], s[34:35]
	v_add_f64 v[98:99], v[98:99], v[104:105]
	v_mul_f64 v[104:105], v[203:204], s[34:35]
	;; [unrolled: 2-line block ×4, first 2 shown]
	v_fma_f64 v[7:8], v[170:171], s[16:17], v[5:6]
	v_add_f64 v[96:97], v[96:97], v[98:99]
	v_fma_f64 v[5:6], v[170:171], s[16:17], -v[5:6]
	v_fma_f64 v[3:4], v[168:169], s[18:19], v[1:2]
	v_fma_f64 v[1:2], v[168:169], s[18:19], -v[1:2]
	v_add_f64 v[7:8], v[7:8], v[96:97]
	v_fma_f64 v[96:97], v[191:192], s[16:17], -v[104:105]
	v_add_f64 v[98:99], v[3:4], v[7:8]
	v_mul_f64 v[3:4], v[201:202], s[22:23]
	v_add_f64 v[96:97], v[96:97], v[110:111]
	v_mul_f64 v[110:111], v[187:188], s[6:7]
	v_fma_f64 v[7:8], v[146:147], s[18:19], -v[3:4]
	v_add_f64 v[96:97], v[7:8], v[96:97]
	v_fma_f64 v[7:8], v[179:180], s[20:21], -v[9:10]
	v_fma_f64 v[9:10], v[181:182], s[14:15], -v[100:101]
	;; [unrolled: 1-line block ×4, first 2 shown]
	v_add_f64 v[102:103], v[126:127], v[102:103]
	v_add_f64 v[100:101], v[100:101], v[102:103]
	;; [unrolled: 1-line block ×3, first 2 shown]
	v_fma_f64 v[100:101], v[199:200], s[2:3], v[221:222]
	v_mul_f64 v[221:222], v[207:208], s[26:27]
	v_add_f64 v[7:8], v[7:8], v[9:10]
	v_fma_f64 v[9:10], v[197:198], s[30:31], v[217:218]
	v_add_f64 v[100:101], v[124:125], v[100:101]
	v_fma_f64 v[217:218], v[122:123], s[16:17], v[215:216]
	v_fma_f64 v[223:224], v[195:196], s[30:31], -v[221:222]
	v_add_f64 v[5:6], v[5:6], v[7:8]
	v_fma_f64 v[7:8], v[195:196], s[14:15], v[213:214]
	v_add_f64 v[9:10], v[9:10], v[100:101]
	v_fma_f64 v[213:214], v[183:184], s[14:15], v[110:111]
	v_add_f64 v[217:218], v[126:127], v[217:218]
	v_add_f64 v[223:224], v[223:224], v[227:228]
	;; [unrolled: 1-line block ×3, first 2 shown]
	v_fma_f64 v[5:6], v[193:194], s[20:21], v[108:109]
	v_add_f64 v[7:8], v[7:8], v[9:10]
	v_mul_f64 v[108:109], v[185:186], s[26:27]
	v_fma_f64 v[1:2], v[146:147], s[18:19], v[3:4]
	v_fma_f64 v[3:4], v[191:192], s[16:17], v[104:105]
	v_mul_f64 v[9:10], v[114:115], s[40:41]
	v_add_f64 v[213:214], v[213:214], v[217:218]
	v_mul_f64 v[217:218], v[205:206], s[40:41]
	v_add_f64 v[5:6], v[5:6], v[7:8]
	v_fma_f64 v[106:107], v[181:182], s[30:31], v[108:109]
	v_fma_f64 v[104:105], v[179:180], s[18:19], v[9:10]
	v_fma_f64 v[219:220], v[193:194], s[18:19], -v[217:218]
	v_add_f64 v[3:4], v[3:4], v[5:6]
	v_mul_f64 v[5:6], v[112:113], s[28:29]
	v_add_f64 v[106:107], v[106:107], v[213:214]
	v_mul_f64 v[213:214], v[203:204], s[28:29]
	v_add_f64 v[219:220], v[219:220], v[223:224]
	v_add_f64 v[100:101], v[1:2], v[3:4]
	v_mul_f64 v[1:2], v[177:178], s[24:25]
	v_fma_f64 v[7:8], v[170:171], s[2:3], v[5:6]
	v_add_f64 v[104:105], v[104:105], v[106:107]
	v_fma_f64 v[5:6], v[170:171], s[2:3], -v[5:6]
	v_fma_f64 v[3:4], v[168:169], s[20:21], v[1:2]
	v_fma_f64 v[1:2], v[168:169], s[20:21], -v[1:2]
	v_add_f64 v[7:8], v[7:8], v[104:105]
	v_fma_f64 v[104:105], v[191:192], s[2:3], -v[213:214]
	v_add_f64 v[106:107], v[3:4], v[7:8]
	v_mul_f64 v[3:4], v[201:202], s[24:25]
	v_add_f64 v[104:105], v[104:105], v[219:220]
	s_mov_b32 s25, 0xbfddbe06
	v_mul_f64 v[189:190], v[189:190], s[24:25]
	v_mul_f64 v[211:212], v[211:212], s[24:25]
	v_fma_f64 v[7:8], v[146:147], s[20:21], -v[3:4]
	v_add_f64 v[104:105], v[7:8], v[104:105]
	v_fma_f64 v[7:8], v[179:180], s[18:19], -v[9:10]
	v_fma_f64 v[9:10], v[181:182], s[30:31], -v[108:109]
	;; [unrolled: 1-line block ×5, first 2 shown]
	v_add_f64 v[110:111], v[126:127], v[110:111]
	v_add_f64 v[215:216], v[124:125], v[215:216]
	;; [unrolled: 1-line block ×4, first 2 shown]
	v_fma_f64 v[108:109], v[199:200], s[16:17], v[229:230]
	v_add_f64 v[7:8], v[7:8], v[9:10]
	v_fma_f64 v[9:10], v[197:198], s[14:15], v[225:226]
	v_add_f64 v[108:109], v[124:125], v[108:109]
	v_add_f64 v[5:6], v[5:6], v[7:8]
	v_fma_f64 v[7:8], v[195:196], s[30:31], v[221:222]
	v_add_f64 v[9:10], v[9:10], v[108:109]
	;; [unrolled: 3-line block ×3, first 2 shown]
	v_fma_f64 v[1:2], v[146:147], s[20:21], v[3:4]
	v_fma_f64 v[3:4], v[191:192], s[2:3], v[213:214]
	;; [unrolled: 1-line block ×3, first 2 shown]
	v_mul_f64 v[9:10], v[114:115], s[6:7]
	v_fma_f64 v[122:123], v[122:123], s[20:21], -v[189:190]
	v_add_f64 v[5:6], v[5:6], v[7:8]
	v_add_f64 v[213:214], v[126:127], v[213:214]
	;; [unrolled: 1-line block ×4, first 2 shown]
	v_mul_f64 v[5:6], v[112:113], s[22:23]
	v_fma_f64 v[112:113], v[179:180], s[14:15], v[9:10]
	v_add_f64 v[108:109], v[1:2], v[3:4]
	v_mul_f64 v[1:2], v[177:178], s[26:27]
	v_mul_f64 v[177:178], v[185:186], s[36:37]
	;; [unrolled: 1-line block ×3, first 2 shown]
	v_fma_f64 v[7:8], v[170:171], s[18:19], v[5:6]
	v_fma_f64 v[3:4], v[168:169], s[30:31], v[1:2]
	;; [unrolled: 1-line block ×4, first 2 shown]
	v_fma_f64 v[1:2], v[168:169], s[30:31], -v[1:2]
	v_fma_f64 v[168:169], v[183:184], s[16:17], -v[185:186]
	v_add_f64 v[187:188], v[187:188], v[213:214]
	v_fma_f64 v[213:214], v[197:198], s[16:17], -v[209:210]
	v_add_f64 v[122:123], v[168:169], v[122:123]
	v_add_f64 v[114:115], v[114:115], v[187:188]
	;; [unrolled: 1-line block ×3, first 2 shown]
	v_mul_f64 v[187:188], v[203:204], s[22:23]
	v_add_f64 v[112:113], v[112:113], v[114:115]
	v_add_f64 v[7:8], v[7:8], v[112:113]
	v_fma_f64 v[112:113], v[191:192], s[18:19], -v[187:188]
	v_add_f64 v[114:115], v[3:4], v[7:8]
	v_mul_f64 v[7:8], v[201:202], s[26:27]
	v_mul_f64 v[201:202], v[205:206], s[6:7]
	;; [unrolled: 1-line block ×3, first 2 shown]
	v_fma_f64 v[3:4], v[146:147], s[30:31], -v[7:8]
	v_fma_f64 v[203:204], v[193:194], s[14:15], -v[201:202]
	;; [unrolled: 1-line block ×3, first 2 shown]
	v_add_f64 v[207:208], v[207:208], v[213:214]
	v_add_f64 v[203:204], v[203:204], v[207:208]
	;; [unrolled: 1-line block ×4, first 2 shown]
	v_fma_f64 v[3:4], v[170:171], s[18:19], -v[5:6]
	v_fma_f64 v[5:6], v[179:180], s[14:15], -v[9:10]
	;; [unrolled: 1-line block ×3, first 2 shown]
	v_add_f64 v[9:10], v[9:10], v[122:123]
	v_fma_f64 v[122:123], v[197:198], s[16:17], v[209:210]
	v_add_f64 v[5:6], v[5:6], v[9:10]
	v_fma_f64 v[9:10], v[195:196], s[2:3], v[205:206]
	;; [unrolled: 2-line block ×4, first 2 shown]
	v_fma_f64 v[146:147], v[199:200], s[20:21], v[211:212]
	v_fma_f64 v[7:8], v[193:194], s[14:15], v[201:202]
	v_add_f64 v[146:147], v[124:125], v[146:147]
	v_add_f64 v[122:123], v[122:123], v[146:147]
	;; [unrolled: 1-line block ×4, first 2 shown]
	buffer_load_dword v10, off, s[48:51], 0 offset:60 ; 4-byte Folded Reload
	v_mul_u32_u24_e32 v9, 26, v251
	v_add_f64 v[5:6], v[5:6], v[7:8]
	v_add_f64 v[1:2], v[1:2], v[5:6]
	;; [unrolled: 1-line block ×11, first 2 shown]
	s_waitcnt vmcnt(0)
	v_or_b32_e32 v9, v9, v10
	v_lshlrev_b32_e32 v9, 4, v9
	v_add_f64 v[5:6], v[5:6], v[148:149]
	v_add_f64 v[5:6], v[5:6], v[130:131]
	;; [unrolled: 1-line block ×15, first 2 shown]
	ds_write_b128 v9, v[5:8]
	ds_write_b128 v9, v[1:4] offset:32
	ds_write_b128 v9, v[108:111] offset:64
	;; [unrolled: 1-line block ×12, first 2 shown]
.LBB0_21:
	s_or_b64 exec, exec, s[4:5]
	s_waitcnt lgkmcnt(0)
	s_barrier
	ds_read_b128 v[1:4], v255 offset:2912
	ds_read_b128 v[5:8], v255 offset:5824
	;; [unrolled: 1-line block ×3, first 2 shown]
	ds_read_b128 v[76:79], v255
	ds_read_b128 v[80:83], v255 offset:11648
	ds_read_b128 v[84:87], v255 offset:14560
	;; [unrolled: 1-line block ×3, first 2 shown]
	s_mov_b32 s4, 0x37e14327
	s_waitcnt lgkmcnt(6)
	v_mul_f64 v[9:10], v[38:39], v[3:4]
	v_mul_f64 v[38:39], v[38:39], v[1:2]
	s_waitcnt lgkmcnt(5)
	v_mul_f64 v[92:93], v[34:35], v[7:8]
	v_mul_f64 v[34:35], v[34:35], v[5:6]
	s_mov_b32 s2, 0x36b3c0b5
	s_mov_b32 s14, 0xe976ee23
	;; [unrolled: 1-line block ×4, first 2 shown]
	v_fma_f64 v[1:2], v[36:37], v[1:2], v[9:10]
	v_fma_f64 v[3:4], v[36:37], v[3:4], -v[38:39]
	v_fma_f64 v[5:6], v[32:33], v[5:6], v[92:93]
	v_fma_f64 v[7:8], v[32:33], v[7:8], -v[34:35]
	s_waitcnt lgkmcnt(0)
	v_mul_f64 v[9:10], v[42:43], v[90:91]
	v_mul_f64 v[32:33], v[42:43], v[88:89]
	;; [unrolled: 1-line block ×8, first 2 shown]
	v_fma_f64 v[9:10], v[40:41], v[88:89], v[9:10]
	v_fma_f64 v[32:33], v[40:41], v[90:91], -v[32:33]
	v_fma_f64 v[34:35], v[28:29], v[72:73], v[34:35]
	v_fma_f64 v[28:29], v[28:29], v[74:75], -v[30:31]
	;; [unrolled: 2-line block ×4, first 2 shown]
	v_add_f64 v[26:27], v[1:2], v[9:10]
	v_add_f64 v[40:41], v[3:4], v[32:33]
	v_add_f64 v[1:2], v[1:2], -v[9:10]
	v_add_f64 v[3:4], v[3:4], -v[32:33]
	v_add_f64 v[9:10], v[5:6], v[30:31]
	v_add_f64 v[32:33], v[7:8], v[36:37]
	v_add_f64 v[5:6], v[5:6], -v[30:31]
	v_add_f64 v[7:8], v[7:8], -v[36:37]
	;; [unrolled: 4-line block ×4, first 2 shown]
	v_add_f64 v[26:27], v[26:27], -v[30:31]
	v_add_f64 v[40:41], v[40:41], -v[36:37]
	;; [unrolled: 1-line block ×4, first 2 shown]
	v_add_f64 v[46:47], v[34:35], v[5:6]
	v_add_f64 v[72:73], v[24:25], v[7:8]
	v_add_f64 v[74:75], v[34:35], -v[5:6]
	v_add_f64 v[80:81], v[24:25], -v[7:8]
	v_add_f64 v[28:29], v[30:31], v[28:29]
	v_add_f64 v[30:31], v[36:37], v[38:39]
	v_add_f64 v[5:6], v[5:6], -v[1:2]
	v_add_f64 v[7:8], v[7:8], -v[3:4]
	s_mov_b32 s15, 0x3fe11646
	s_mov_b32 s6, 0x429ad128
	v_add_f64 v[34:35], v[1:2], -v[34:35]
	v_add_f64 v[24:25], v[3:4], -v[24:25]
	v_add_f64 v[36:37], v[46:47], v[1:2]
	v_add_f64 v[38:39], v[72:73], v[3:4]
	;; [unrolled: 1-line block ×4, first 2 shown]
	v_mul_f64 v[26:27], v[26:27], s[4:5]
	v_mul_f64 v[40:41], v[40:41], s[4:5]
	;; [unrolled: 1-line block ×6, first 2 shown]
	s_mov_b32 s7, 0xbfebfeb5
	v_mul_f64 v[78:79], v[5:6], s[6:7]
	v_mul_f64 v[80:81], v[7:8], s[6:7]
	s_mov_b32 s16, 0xaaaaaaaa
	s_mov_b32 s18, 0x5476071b
	;; [unrolled: 1-line block ×8, first 2 shown]
	v_fma_f64 v[28:29], v[28:29], s[16:17], v[1:2]
	v_fma_f64 v[30:31], v[30:31], s[16:17], v[3:4]
	;; [unrolled: 1-line block ×4, first 2 shown]
	v_fma_f64 v[46:47], v[42:43], s[18:19], -v[46:47]
	v_fma_f64 v[72:73], v[44:45], s[18:19], -v[72:73]
	;; [unrolled: 1-line block ×4, first 2 shown]
	v_fma_f64 v[42:43], v[34:35], s[22:23], v[74:75]
	v_fma_f64 v[44:45], v[24:25], s[22:23], v[76:77]
	s_mov_b32 s27, 0x3fd5d0dc
	s_mov_b32 s26, s22
	v_fma_f64 v[34:35], v[34:35], s[26:27], -v[78:79]
	v_fma_f64 v[24:25], v[24:25], s[26:27], -v[80:81]
	v_fma_f64 v[5:6], v[5:6], s[6:7], -v[74:75]
	v_fma_f64 v[7:8], v[7:8], s[6:7], -v[76:77]
	s_mov_b32 s24, 0x37c3f68c
	s_mov_b32 s25, 0xbfdc38aa
	v_add_f64 v[9:10], v[9:10], v[28:29]
	v_add_f64 v[74:75], v[32:33], v[30:31]
	v_fma_f64 v[44:45], v[38:39], s[24:25], v[44:45]
	v_fma_f64 v[42:43], v[36:37], s[24:25], v[42:43]
	v_add_f64 v[32:33], v[46:47], v[28:29]
	v_add_f64 v[46:47], v[72:73], v[30:31]
	;; [unrolled: 1-line block ×4, first 2 shown]
	v_fma_f64 v[76:77], v[38:39], s[24:25], v[24:25]
	v_fma_f64 v[78:79], v[36:37], s[24:25], v[34:35]
	;; [unrolled: 1-line block ×4, first 2 shown]
	v_add_f64 v[5:6], v[44:45], v[9:10]
	v_add_f64 v[7:8], v[74:75], -v[42:43]
	v_add_f64 v[42:43], v[42:43], v[74:75]
	v_add_f64 v[24:25], v[76:77], v[72:73]
	v_add_f64 v[26:27], v[40:41], -v[78:79]
	v_add_f64 v[28:29], v[32:33], -v[34:35]
	v_add_f64 v[30:31], v[36:37], v[46:47]
	v_add_f64 v[32:33], v[34:35], v[32:33]
	v_add_f64 v[34:35], v[46:47], -v[36:37]
	v_add_f64 v[36:37], v[72:73], -v[76:77]
	v_add_f64 v[38:39], v[78:79], v[40:41]
	v_add_f64 v[40:41], v[9:10], -v[44:45]
	s_barrier
	ds_write_b128 v0, v[1:4]
	ds_write_b128 v0, v[5:8] offset:416
	ds_write_b128 v0, v[24:27] offset:832
	;; [unrolled: 1-line block ×6, first 2 shown]
	s_waitcnt lgkmcnt(0)
	s_barrier
	ds_read_b128 v[0:3], v255 offset:2912
	ds_read_b128 v[4:7], v255 offset:5824
	;; [unrolled: 1-line block ×3, first 2 shown]
	ds_read_b128 v[24:27], v255
	ds_read_b128 v[28:31], v255 offset:11648
	ds_read_b128 v[32:35], v255 offset:14560
	;; [unrolled: 1-line block ×3, first 2 shown]
	s_waitcnt lgkmcnt(6)
	v_mul_f64 v[40:41], v[62:63], v[2:3]
	s_waitcnt lgkmcnt(5)
	v_mul_f64 v[44:45], v[58:59], v[6:7]
	v_mul_f64 v[46:47], v[58:59], v[4:5]
	;; [unrolled: 1-line block ×3, first 2 shown]
	s_waitcnt lgkmcnt(2)
	v_mul_f64 v[58:59], v[50:51], v[30:31]
	v_mul_f64 v[50:51], v[50:51], v[28:29]
	v_fma_f64 v[0:1], v[60:61], v[0:1], v[40:41]
	v_fma_f64 v[4:5], v[56:57], v[4:5], v[44:45]
	v_fma_f64 v[6:7], v[56:57], v[6:7], -v[46:47]
	s_waitcnt lgkmcnt(0)
	v_mul_f64 v[40:41], v[66:67], v[38:39]
	v_mul_f64 v[44:45], v[54:55], v[10:11]
	;; [unrolled: 1-line block ×4, first 2 shown]
	v_fma_f64 v[2:3], v[60:61], v[2:3], -v[42:43]
	v_mul_f64 v[42:43], v[66:67], v[36:37]
	v_mul_f64 v[56:57], v[70:71], v[32:33]
	v_fma_f64 v[28:29], v[48:49], v[28:29], v[58:59]
	v_fma_f64 v[36:37], v[64:65], v[36:37], v[40:41]
	v_fma_f64 v[8:9], v[52:53], v[8:9], v[44:45]
	v_fma_f64 v[10:11], v[52:53], v[10:11], -v[46:47]
	v_fma_f64 v[32:33], v[68:69], v[32:33], v[54:55]
	v_fma_f64 v[30:31], v[48:49], v[30:31], -v[50:51]
	v_fma_f64 v[38:39], v[64:65], v[38:39], -v[42:43]
	;; [unrolled: 1-line block ×3, first 2 shown]
	v_add_f64 v[40:41], v[0:1], v[36:37]
	v_add_f64 v[0:1], v[0:1], -v[36:37]
	v_add_f64 v[36:37], v[4:5], v[32:33]
	v_add_f64 v[4:5], v[4:5], -v[32:33]
	;; [unrolled: 2-line block ×4, first 2 shown]
	v_add_f64 v[32:33], v[8:9], v[28:29]
	v_add_f64 v[34:35], v[10:11], v[30:31]
	v_add_f64 v[8:9], v[28:29], -v[8:9]
	v_add_f64 v[10:11], v[30:31], -v[10:11]
	v_add_f64 v[28:29], v[36:37], v[40:41]
	v_add_f64 v[44:45], v[36:37], -v[40:41]
	v_add_f64 v[30:31], v[38:39], v[42:43]
	v_add_f64 v[46:47], v[38:39], -v[42:43]
	v_add_f64 v[40:41], v[40:41], -v[32:33]
	;; [unrolled: 1-line block ×3, first 2 shown]
	v_add_f64 v[48:49], v[8:9], v[4:5]
	v_add_f64 v[50:51], v[10:11], v[6:7]
	v_add_f64 v[54:55], v[10:11], -v[6:7]
	v_add_f64 v[28:29], v[32:33], v[28:29]
	v_add_f64 v[42:43], v[42:43], -v[34:35]
	v_add_f64 v[38:39], v[34:35], -v[38:39]
	;; [unrolled: 1-line block ×3, first 2 shown]
	v_add_f64 v[30:31], v[34:35], v[30:31]
	v_add_f64 v[8:9], v[0:1], -v[8:9]
	v_add_f64 v[4:5], v[4:5], -v[0:1]
	;; [unrolled: 1-line block ×3, first 2 shown]
	v_add_f64 v[32:33], v[48:49], v[0:1]
	v_add_f64 v[34:35], v[50:51], v[2:3]
	;; [unrolled: 1-line block ×3, first 2 shown]
	v_mul_f64 v[24:25], v[40:41], s[4:5]
	v_mul_f64 v[40:41], v[36:37], s[2:3]
	;; [unrolled: 1-line block ×6, first 2 shown]
	v_add_f64 v[10:11], v[2:3], -v[10:11]
	v_fma_f64 v[28:29], v[28:29], s[16:17], v[0:1]
	v_fma_f64 v[36:37], v[36:37], s[2:3], v[24:25]
	v_fma_f64 v[40:41], v[44:45], s[18:19], -v[40:41]
	v_fma_f64 v[24:25], v[44:45], s[20:21], -v[24:25]
	;; [unrolled: 1-line block ×3, first 2 shown]
	v_fma_f64 v[44:45], v[8:9], s[22:23], v[48:49]
	v_fma_f64 v[4:5], v[4:5], s[6:7], -v[48:49]
	v_add_f64 v[2:3], v[26:27], v[30:31]
	v_mul_f64 v[26:27], v[42:43], s[4:5]
	v_add_f64 v[36:37], v[36:37], v[28:29]
	v_add_f64 v[40:41], v[40:41], v[28:29]
	;; [unrolled: 1-line block ×3, first 2 shown]
	v_fma_f64 v[28:29], v[34:35], s[24:25], v[6:7]
	v_mul_f64 v[42:43], v[38:39], s[2:3]
	v_fma_f64 v[8:9], v[8:9], s[26:27], -v[52:53]
	v_fma_f64 v[30:31], v[30:31], s[16:17], v[2:3]
	v_fma_f64 v[38:39], v[38:39], s[2:3], v[26:27]
	v_fma_f64 v[26:27], v[46:47], s[20:21], -v[26:27]
	v_fma_f64 v[44:45], v[32:33], s[24:25], v[44:45]
	s_mul_hi_u32 s7, s8, 0xfffffe39
	v_add_f64 v[24:25], v[40:41], -v[28:29]
	v_add_f64 v[28:29], v[28:29], v[40:41]
	buffer_load_dword v40, off, s[48:51], 0 offset:4 ; 4-byte Folded Reload
	buffer_load_dword v41, off, s[48:51], 0 offset:8 ; 4-byte Folded Reload
	v_fma_f64 v[42:43], v[46:47], s[18:19], -v[42:43]
	v_fma_f64 v[46:47], v[10:11], s[22:23], v[50:51]
	v_fma_f64 v[10:11], v[10:11], s[26:27], -v[54:55]
	v_add_f64 v[38:39], v[38:39], v[30:31]
	v_add_f64 v[50:51], v[26:27], v[30:31]
	v_fma_f64 v[54:55], v[32:33], s[24:25], v[8:9]
	s_mul_i32 s6, s9, 0xfffffe39
	s_sub_i32 s7, s7, s8
	v_add_f64 v[42:43], v[42:43], v[30:31]
	v_fma_f64 v[46:47], v[34:35], s[24:25], v[46:47]
	v_fma_f64 v[52:53], v[34:35], s[24:25], v[10:11]
	;; [unrolled: 1-line block ×3, first 2 shown]
	v_add_f64 v[6:7], v[38:39], -v[44:45]
	v_add_f64 v[10:11], v[50:51], -v[54:55]
	v_add_f64 v[34:35], v[54:55], v[50:51]
	v_add_f64 v[38:39], v[44:45], v[38:39]
	s_add_i32 s7, s7, s6
	v_add_f64 v[4:5], v[46:47], v[36:37]
	v_add_f64 v[8:9], v[52:53], v[48:49]
	;; [unrolled: 1-line block ×3, first 2 shown]
	v_add_f64 v[30:31], v[42:43], -v[30:31]
	v_add_f64 v[32:33], v[48:49], -v[52:53]
	;; [unrolled: 1-line block ×3, first 2 shown]
	ds_write_b128 v255, v[0:3]
	ds_write_b128 v255, v[4:7] offset:2912
	ds_write_b128 v255, v[8:11] offset:5824
	;; [unrolled: 1-line block ×6, first 2 shown]
	s_waitcnt vmcnt(0) lgkmcnt(0)
	s_barrier
	ds_read_b128 v[0:3], v255
	ds_read_b128 v[4:7], v255 offset:2912
	v_mov_b32_e32 v32, s13
	s_mul_i32 s6, s8, 0xfffffe39
	s_lshl_b64 s[6:7], s[6:7], 4
	s_waitcnt lgkmcnt(1)
	v_mul_f64 v[9:10], v[22:23], v[2:3]
	v_mul_f64 v[22:23], v[22:23], v[0:1]
	v_mov_b32_e32 v42, v40
	v_mad_u64_u32 v[40:41], s[2:3], s10, v42, 0
	v_mov_b32_e32 v8, v41
	v_mad_u64_u32 v[24:25], s[2:3], s11, v42, v[8:9]
	v_fma_f64 v[8:9], v[20:21], v[0:1], v[9:10]
	v_fma_f64 v[10:11], v[20:21], v[2:3], -v[22:23]
	v_mov_b32_e32 v41, v24
	v_mad_u64_u32 v[24:25], s[2:3], s8, v252, 0
	s_mov_b32 s2, 0xf5262dd1
	s_mov_b32 s3, 0x3f49b876
	v_mov_b32_e32 v0, v25
	v_mad_u64_u32 v[20:21], s[4:5], s9, v252, v[0:1]
	ds_read_b128 v[0:3], v255 offset:10192
	v_mul_f64 v[8:9], v[8:9], s[2:3]
	v_mov_b32_e32 v25, v20
	ds_read_b128 v[20:23], v255 offset:5824
	buffer_load_dword v33, off, s[48:51], 0 offset:12 ; 4-byte Folded Reload
	buffer_load_dword v34, off, s[48:51], 0 offset:16 ; 4-byte Folded Reload
	;; [unrolled: 1-line block ×4, first 2 shown]
	v_mul_f64 v[10:11], v[10:11], s[2:3]
	v_lshlrev_b64 v[30:31], 4, v[40:41]
	v_lshlrev_b64 v[24:25], 4, v[24:25]
	v_add_co_u32_e32 v30, vcc, s12, v30
	v_addc_co_u32_e32 v31, vcc, v32, v31, vcc
	v_add_co_u32_e32 v24, vcc, v30, v24
	v_addc_co_u32_e32 v25, vcc, v31, v25, vcc
	global_store_dwordx4 v[24:25], v[8:11], off
	s_mul_i32 s4, s9, 0x27d
	s_mul_hi_u32 s5, s8, 0x27d
	s_add_i32 s5, s5, s4
	s_mul_i32 s4, s8, 0x27d
	s_lshl_b64 s[4:5], s[4:5], 4
	v_mov_b32_e32 v30, s5
	v_add_co_u32_e32 v24, vcc, s4, v24
	v_addc_co_u32_e32 v25, vcc, v25, v30, vcc
	v_mov_b32_e32 v31, s7
	s_waitcnt vmcnt(1) lgkmcnt(1)
	v_mul_f64 v[26:27], v[35:36], v[2:3]
	v_mul_f64 v[28:29], v[35:36], v[0:1]
	v_fma_f64 v[0:1], v[33:34], v[0:1], v[26:27]
	v_fma_f64 v[2:3], v[33:34], v[2:3], -v[28:29]
	buffer_load_dword v26, off, s[48:51], 0 offset:28 ; 4-byte Folded Reload
	buffer_load_dword v27, off, s[48:51], 0 offset:32 ; 4-byte Folded Reload
	buffer_load_dword v28, off, s[48:51], 0 offset:36 ; 4-byte Folded Reload
	buffer_load_dword v29, off, s[48:51], 0 offset:40 ; 4-byte Folded Reload
	v_mul_f64 v[0:1], v[0:1], s[2:3]
	v_mul_f64 v[2:3], v[2:3], s[2:3]
	global_store_dwordx4 v[24:25], v[0:3], off
	ds_read_b128 v[0:3], v255 offset:13104
	v_add_co_u32_e32 v24, vcc, s6, v24
	v_addc_co_u32_e32 v25, vcc, v25, v31, vcc
	s_waitcnt vmcnt(1)
	v_mul_f64 v[8:9], v[28:29], v[6:7]
	v_mul_f64 v[10:11], v[28:29], v[4:5]
	v_fma_f64 v[4:5], v[26:27], v[4:5], v[8:9]
	v_fma_f64 v[6:7], v[26:27], v[6:7], -v[10:11]
	ds_read_b128 v[8:11], v255 offset:16016
	buffer_load_dword v32, off, s[48:51], 0 offset:44 ; 4-byte Folded Reload
	buffer_load_dword v33, off, s[48:51], 0 offset:48 ; 4-byte Folded Reload
	;; [unrolled: 1-line block ×4, first 2 shown]
	v_mul_f64 v[4:5], v[4:5], s[2:3]
	v_mul_f64 v[6:7], v[6:7], s[2:3]
	global_store_dwordx4 v[24:25], v[4:7], off
	s_waitcnt vmcnt(1) lgkmcnt(1)
	v_mul_f64 v[26:27], v[34:35], v[2:3]
	v_mul_f64 v[28:29], v[34:35], v[0:1]
	v_fma_f64 v[0:1], v[32:33], v[0:1], v[26:27]
	v_mul_f64 v[26:27], v[14:15], v[22:23]
	v_mul_f64 v[14:15], v[14:15], v[20:21]
	v_fma_f64 v[2:3], v[32:33], v[2:3], -v[28:29]
	s_waitcnt lgkmcnt(0)
	v_mul_f64 v[28:29], v[18:19], v[10:11]
	v_mul_f64 v[18:19], v[18:19], v[8:9]
	;; [unrolled: 1-line block ×3, first 2 shown]
	v_fma_f64 v[4:5], v[12:13], v[20:21], v[26:27]
	v_fma_f64 v[6:7], v[12:13], v[22:23], -v[14:15]
	v_mul_f64 v[2:3], v[2:3], s[2:3]
	v_fma_f64 v[8:9], v[16:17], v[8:9], v[28:29]
	v_fma_f64 v[10:11], v[16:17], v[10:11], -v[18:19]
	v_add_co_u32_e32 v12, vcc, s4, v24
	v_addc_co_u32_e32 v13, vcc, v25, v30, vcc
	v_mul_f64 v[4:5], v[4:5], s[2:3]
	v_mul_f64 v[6:7], v[6:7], s[2:3]
	;; [unrolled: 1-line block ×4, first 2 shown]
	global_store_dwordx4 v[12:13], v[0:3], off
	s_nop 0
	v_add_co_u32_e32 v0, vcc, s6, v12
	v_addc_co_u32_e32 v1, vcc, v13, v31, vcc
	global_store_dwordx4 v[0:1], v[4:7], off
	v_add_co_u32_e32 v0, vcc, s4, v0
	v_addc_co_u32_e32 v1, vcc, v1, v30, vcc
	global_store_dwordx4 v[0:1], v[8:11], off
	s_and_b64 exec, exec, s[0:1]
	s_cbranch_execz .LBB0_23
; %bb.22:
	buffer_load_dword v7, off, s[48:51], 0  ; 4-byte Folded Reload
	v_add_co_u32_e32 v2, vcc, 0x2000, v176
	s_movk_i32 s0, 0x4000
	s_waitcnt vmcnt(0)
	v_addc_co_u32_e32 v3, vcc, 0, v7, vcc
	v_add_co_u32_e32 v6, vcc, s0, v176
	global_load_dwordx4 v[2:5], v[2:3], off offset:544
	v_addc_co_u32_e32 v7, vcc, 0, v7, vcc
	global_load_dwordx4 v[6:9], v[6:7], off offset:2544
	ds_read_b128 v[10:13], v255 offset:8736
	ds_read_b128 v[14:17], v255 offset:18928
	v_add_co_u32_e32 v0, vcc, s6, v0
	s_waitcnt vmcnt(1) lgkmcnt(1)
	v_mul_f64 v[18:19], v[12:13], v[4:5]
	v_mul_f64 v[4:5], v[10:11], v[4:5]
	s_waitcnt vmcnt(0) lgkmcnt(0)
	v_mul_f64 v[20:21], v[16:17], v[8:9]
	v_mul_f64 v[8:9], v[14:15], v[8:9]
	v_fma_f64 v[10:11], v[10:11], v[2:3], v[18:19]
	v_fma_f64 v[4:5], v[2:3], v[12:13], -v[4:5]
	v_fma_f64 v[12:13], v[14:15], v[6:7], v[20:21]
	v_fma_f64 v[8:9], v[6:7], v[16:17], -v[8:9]
	v_mov_b32_e32 v14, s7
	v_addc_co_u32_e32 v1, vcc, v1, v14, vcc
	v_mul_f64 v[2:3], v[10:11], s[2:3]
	v_mul_f64 v[4:5], v[4:5], s[2:3]
	v_mov_b32_e32 v15, s5
	v_mul_f64 v[6:7], v[12:13], s[2:3]
	v_mul_f64 v[8:9], v[8:9], s[2:3]
	v_add_co_u32_e32 v10, vcc, s4, v0
	v_addc_co_u32_e32 v11, vcc, v1, v15, vcc
	global_store_dwordx4 v[0:1], v[2:5], off
	global_store_dwordx4 v[10:11], v[6:9], off
.LBB0_23:
	s_endpgm
	.section	.rodata,"a",@progbits
	.p2align	6, 0x0
	.amdhsa_kernel bluestein_single_back_len1274_dim1_dp_op_CI_CI
		.amdhsa_group_segment_fixed_size 20384
		.amdhsa_private_segment_fixed_size 320
		.amdhsa_kernarg_size 104
		.amdhsa_user_sgpr_count 6
		.amdhsa_user_sgpr_private_segment_buffer 1
		.amdhsa_user_sgpr_dispatch_ptr 0
		.amdhsa_user_sgpr_queue_ptr 0
		.amdhsa_user_sgpr_kernarg_segment_ptr 1
		.amdhsa_user_sgpr_dispatch_id 0
		.amdhsa_user_sgpr_flat_scratch_init 0
		.amdhsa_user_sgpr_private_segment_size 0
		.amdhsa_uses_dynamic_stack 0
		.amdhsa_system_sgpr_private_segment_wavefront_offset 1
		.amdhsa_system_sgpr_workgroup_id_x 1
		.amdhsa_system_sgpr_workgroup_id_y 0
		.amdhsa_system_sgpr_workgroup_id_z 0
		.amdhsa_system_sgpr_workgroup_info 0
		.amdhsa_system_vgpr_workitem_id 0
		.amdhsa_next_free_vgpr 256
		.amdhsa_next_free_sgpr 52
		.amdhsa_reserve_vcc 1
		.amdhsa_reserve_flat_scratch 0
		.amdhsa_float_round_mode_32 0
		.amdhsa_float_round_mode_16_64 0
		.amdhsa_float_denorm_mode_32 3
		.amdhsa_float_denorm_mode_16_64 3
		.amdhsa_dx10_clamp 1
		.amdhsa_ieee_mode 1
		.amdhsa_fp16_overflow 0
		.amdhsa_exception_fp_ieee_invalid_op 0
		.amdhsa_exception_fp_denorm_src 0
		.amdhsa_exception_fp_ieee_div_zero 0
		.amdhsa_exception_fp_ieee_overflow 0
		.amdhsa_exception_fp_ieee_underflow 0
		.amdhsa_exception_fp_ieee_inexact 0
		.amdhsa_exception_int_div_zero 0
	.end_amdhsa_kernel
	.text
.Lfunc_end0:
	.size	bluestein_single_back_len1274_dim1_dp_op_CI_CI, .Lfunc_end0-bluestein_single_back_len1274_dim1_dp_op_CI_CI
                                        ; -- End function
	.section	.AMDGPU.csdata,"",@progbits
; Kernel info:
; codeLenInByte = 18040
; NumSgprs: 56
; NumVgprs: 256
; ScratchSize: 320
; MemoryBound: 0
; FloatMode: 240
; IeeeMode: 1
; LDSByteSize: 20384 bytes/workgroup (compile time only)
; SGPRBlocks: 6
; VGPRBlocks: 63
; NumSGPRsForWavesPerEU: 56
; NumVGPRsForWavesPerEU: 256
; Occupancy: 1
; WaveLimiterHint : 1
; COMPUTE_PGM_RSRC2:SCRATCH_EN: 1
; COMPUTE_PGM_RSRC2:USER_SGPR: 6
; COMPUTE_PGM_RSRC2:TRAP_HANDLER: 0
; COMPUTE_PGM_RSRC2:TGID_X_EN: 1
; COMPUTE_PGM_RSRC2:TGID_Y_EN: 0
; COMPUTE_PGM_RSRC2:TGID_Z_EN: 0
; COMPUTE_PGM_RSRC2:TIDIG_COMP_CNT: 0
	.type	__hip_cuid_7b4fbd3384d0b880,@object ; @__hip_cuid_7b4fbd3384d0b880
	.section	.bss,"aw",@nobits
	.globl	__hip_cuid_7b4fbd3384d0b880
__hip_cuid_7b4fbd3384d0b880:
	.byte	0                               ; 0x0
	.size	__hip_cuid_7b4fbd3384d0b880, 1

	.ident	"AMD clang version 19.0.0git (https://github.com/RadeonOpenCompute/llvm-project roc-6.4.0 25133 c7fe45cf4b819c5991fe208aaa96edf142730f1d)"
	.section	".note.GNU-stack","",@progbits
	.addrsig
	.addrsig_sym __hip_cuid_7b4fbd3384d0b880
	.amdgpu_metadata
---
amdhsa.kernels:
  - .args:
      - .actual_access:  read_only
        .address_space:  global
        .offset:         0
        .size:           8
        .value_kind:     global_buffer
      - .actual_access:  read_only
        .address_space:  global
        .offset:         8
        .size:           8
        .value_kind:     global_buffer
      - .actual_access:  read_only
        .address_space:  global
        .offset:         16
        .size:           8
        .value_kind:     global_buffer
      - .actual_access:  read_only
        .address_space:  global
        .offset:         24
        .size:           8
        .value_kind:     global_buffer
      - .actual_access:  read_only
        .address_space:  global
        .offset:         32
        .size:           8
        .value_kind:     global_buffer
      - .offset:         40
        .size:           8
        .value_kind:     by_value
      - .address_space:  global
        .offset:         48
        .size:           8
        .value_kind:     global_buffer
      - .address_space:  global
        .offset:         56
        .size:           8
        .value_kind:     global_buffer
      - .address_space:  global
        .offset:         64
        .size:           8
        .value_kind:     global_buffer
      - .address_space:  global
        .offset:         72
        .size:           8
        .value_kind:     global_buffer
      - .offset:         80
        .size:           4
        .value_kind:     by_value
      - .address_space:  global
        .offset:         88
        .size:           8
        .value_kind:     global_buffer
      - .address_space:  global
        .offset:         96
        .size:           8
        .value_kind:     global_buffer
    .group_segment_fixed_size: 20384
    .kernarg_segment_align: 8
    .kernarg_segment_size: 104
    .language:       OpenCL C
    .language_version:
      - 2
      - 0
    .max_flat_workgroup_size: 182
    .name:           bluestein_single_back_len1274_dim1_dp_op_CI_CI
    .private_segment_fixed_size: 320
    .sgpr_count:     56
    .sgpr_spill_count: 0
    .symbol:         bluestein_single_back_len1274_dim1_dp_op_CI_CI.kd
    .uniform_work_group_size: 1
    .uses_dynamic_stack: false
    .vgpr_count:     256
    .vgpr_spill_count: 79
    .wavefront_size: 64
amdhsa.target:   amdgcn-amd-amdhsa--gfx906
amdhsa.version:
  - 1
  - 2
...

	.end_amdgpu_metadata
